;; amdgpu-corpus repo=ROCm/aiter kind=harvested arch=n/a opt=n/a

/root/src/amdgpu-assembly/repos/ROCm__aiter/hsa/gfx950/fmha_v3_fwd/fwd_hd192_hd128_bf16.co:	file format elf64-amdgpu

Disassembly of section .text:

0000000000003300 <_ZN5aiter25fmha_fwd_hd192_hd128_bf16E>:
	s_and_b32 s1, s1, 0xffff                                   // 000000003300: 8601FF01 0000FFFF
	s_load_dwordx2 s[20:21], s[0:1], 0x0                       // 000000003308: C0060500 00000000
	s_load_dwordx2 s[8:9], s[0:1], 0x10                        // 000000003310: C0060200 00000010
	s_load_dwordx2 s[12:13], s[0:1], 0x20                      // 000000003318: C0060300 00000020
	s_load_dwordx2 s[16:17], s[0:1], 0x30                      // 000000003320: C0060400 00000030
	s_load_dwordx2 s[24:25], s[0:1], 0x40                      // 000000003328: C0060600 00000040
	s_load_dword s6, s[0:1], 0x50                              // 000000003330: C0020180 00000050
	s_load_dword s37, s[0:1], 0x60                             // 000000003338: C0020940 00000060
	s_load_dword s40, s[0:1], 0x70                             // 000000003340: C0020A00 00000070
	s_load_dword s43, s[0:1], 0x80                             // 000000003348: C0020AC0 00000080
	s_load_dword s41, s[0:1], 0x90                             // 000000003350: C0020A40 00000090
	s_load_dword s42, s[0:1], 0xa0                             // 000000003358: C0020A80 000000A0
	s_load_dword s7, s[0:1], 0xb0                              // 000000003360: C00201C0 000000B0
	s_load_dword s45, s[0:1], 0xc0                             // 000000003368: C0020B40 000000C0
	s_load_dword s46, s[0:1], 0xd0                             // 000000003370: C0020B80 000000D0
	s_load_dword s47, s[0:1], 0xe0                             // 000000003378: C0020BC0 000000E0
	s_load_dword s28, s[0:1], 0xf0                             // 000000003380: C0020700 000000F0
	s_load_dword s29, s[0:1], 0x100                            // 000000003388: C0020740 00000100
	s_load_dword s38, s[0:1], 0x110                            // 000000003390: C0020980 00000110
	s_load_dword s75, s[0:1], 0x140                            // 000000003398: C00212C0 00000140
	s_load_dword s48, s[0:1], 0x150                            // 0000000033A0: C0020C00 00000150
	s_load_dword s49, s[0:1], 0x160                            // 0000000033A8: C0020C40 00000160
	s_load_dword s50, s[0:1], 0x170                            // 0000000033B0: C0020C80 00000170
	s_load_dword s51, s[0:1], 0x180                            // 0000000033B8: C0020CC0 00000180
	s_load_dword s52, s[0:1], 0x190                            // 0000000033C0: C0020D00 00000190
	s_load_dword s53, s[0:1], 0x1a0                            // 0000000033C8: C0020D40 000001A0
	s_load_dwordx2 s[76:77], s[0:1], 0x1b0                     // 0000000033D0: C0061300 000001B0
	s_load_dwordx2 s[78:79], s[0:1], 0x1c0                     // 0000000033D8: C0061380 000001C0
	s_load_dword s44, s[0:1], 0x1d0                            // 0000000033E0: C0020B00 000001D0
	s_load_dwordx2 s[80:81], s[0:1], 0x1e0                     // 0000000033E8: C0061400 000001E0
	s_load_dwordx2 s[82:83], s[0:1], 0x1f0                     // 0000000033F0: C0061480 000001F0
	v_lshrrev_b32_e32 v1, 10, v0                               // 0000000033F8: 2002008A
	v_lshrrev_b32_e32 v2, 10, v1                               // 0000000033FC: 2004028A
	v_and_b32_e32 v2, 0x3ff, v2                                // 000000003400: 260404FF 000003FF
	v_and_b32_e32 v1, 0x3ff, v1                                // 000000003408: 260202FF 000003FF
	v_and_b32_e32 v0, 0x3ff, v0                                // 000000003410: 260000FF 000003FF
	v_lshrrev_b32_e32 v3, 6, v0                                // 000000003418: 20060086
	v_and_b32_e32 v0, 63, v0                                   // 00000000341C: 260000BF
	s_mov_b32 s2, s2                                           // 000000003420: BE820002
	s_mov_b32 s3, s3                                           // 000000003424: BE830003
	s_mov_b32 s4, s4                                           // 000000003428: BE840004
	v_readfirstlane_b32 s5, v3                                 // 00000000342C: 7E0A0503
	s_waitcnt lgkmcnt(0)                                       // 000000003430: BF8CC07F
	s_mul_i32 s72, s37, s40                                    // 000000003434: 92482825
	s_mov_b32 s10, s72                                         // 000000003438: BE8A0048
	s_mul_i32 s72, s37, s51                                    // 00000000343C: 92483325
	s_mov_b32 s22, s72                                         // 000000003440: BE960048
	s_mul_i32 s72, s38, s45                                    // 000000003444: 92482D26
	s_mov_b32 s14, s72                                         // 000000003448: BE8E0048
	s_mul_i32 s72, s38, s48                                    // 00000000344C: 92483026
	s_mov_b32 s18, s72                                         // 000000003450: BE920048
	s_mul_i32 s72, s37, 4                                      // 000000003454: 92488425
	s_mov_b32 s26, s72                                         // 000000003458: BE9A0048
	s_mov_b32 s23, 0x20000                                     // 00000000345C: BE9700FF 00020000
	s_and_b32 s21, s21, 0xffff                                 // 000000003464: 8615FF15 0000FFFF
	s_mov_b32 s11, 0x20000                                     // 00000000346C: BE8B00FF 00020000
	s_and_b32 s9, s9, 0xffff                                   // 000000003474: 8609FF09 0000FFFF
	s_mov_b32 s15, 0x20000                                     // 00000000347C: BE8F00FF 00020000
	s_and_b32 s13, s13, 0xffff                                 // 000000003484: 860DFF0D 0000FFFF
	s_mov_b32 s19, 0x20000                                     // 00000000348C: BE9300FF 00020000
	s_and_b32 s17, s17, 0xffff                                 // 000000003494: 8611FF11 0000FFFF
	s_mov_b32 s27, 0x20000                                     // 00000000349C: BE9B00FF 00020000
	s_and_b32 s25, s25, 0xffff                                 // 0000000034A4: 8619FF19 0000FFFF
	s_nop 0                                                    // 0000000034AC: BF800000
	s_nop 0                                                    // 0000000034B0: BF800000
	v_cvt_f32_u32_e32 v226, s7                                 // 0000000034B4: 7FC40C07
	s_sub_i32 s72, 0, s7                                       // 0000000034B8: 81C80780
	v_rcp_iflag_f32_e32 v226, v226                             // 0000000034BC: 7FC447E2
	s_nop 0                                                    // 0000000034C0: BF800000
	v_mul_f32_e32 v226, 0x4f7ffffe, v226                       // 0000000034C4: 0BC5C4FF 4F7FFFFE
	v_cvt_u32_f32_e32 v226, v226                               // 0000000034CC: 7FC40FE2
	v_mul_lo_u32 v227, s72, v226                               // 0000000034D0: D28500E3 0003C448
	v_mul_hi_u32 v227, v226, v227                              // 0000000034D8: D28600E3 0003C7E2
	v_add_u32_e32 v226, v226, v227                             // 0000000034E0: 69C5C7E2
	v_mul_hi_u32 v226, s3, v226                                // 0000000034E4: D28600E2 0003C403
	v_mul_lo_u32 v227, v226, s7                                // 0000000034EC: D28500E3 00000FE2
	v_sub_u32_e32 v229, s3, v227                               // 0000000034F4: 6BCBC603
	v_add_u32_e32 v228, 1, v226                                // 0000000034F8: 69C9C481
	v_cmp_le_u32_e32 vcc, s7, v229                             // 0000000034FC: 7D97CA07
	v_subrev_u32_e32 v227, s7, v229                            // 000000003500: 6DC7CA07
	s_nop 0                                                    // 000000003504: BF800000
	v_cndmask_b32_e32 v226, v226, v228, vcc                    // 000000003508: 01C5C9E2
	v_cndmask_b32_e32 v229, v229, v227, vcc                    // 00000000350C: 01CBC7E5
	v_add_u32_e32 v227, 1, v226                                // 000000003510: 69C7C481
	v_cmp_le_u32_e32 vcc, s7, v229                             // 000000003514: 7D97CA07
	s_nop 1                                                    // 000000003518: BF800001
	v_cndmask_b32_e32 v229, v226, v227, vcc                    // 00000000351C: 01CBC7E2
	s_nop 3                                                    // 000000003520: BF800003
	v_readfirstlane_b32 s39, v229                              // 000000003524: 7E4E05E5
	s_nop 3                                                    // 000000003528: BF800003
	s_mov_b32 s56, 0                                           // 00000000352C: BEB80080
	s_mov_b32 s57, 0                                           // 000000003530: BEB90080
	s_mul_i32 s58, 0x80, s45                                   // 000000003534: 923A2DFF 00000080
	s_mul_i32 s59, 0x80, s48                                   // 00000000353C: 923B30FF 00000080
	s_mul_i32 s72, s4, s42                                     // 000000003544: 92482A04
	s_mul_hi_u32 s74, s4, s42                                  // 000000003548: 964A2A04
	s_and_b32 s74, s74, 0xffff                                 // 00000000354C: 864AFF4A 0000FFFF
	s_mul_i32 s73, s3, s41                                     // 000000003554: 92492903
	s_add_u32 s72, s72, s73                                    // 000000003558: 80484948
	s_add_u32 s8, s72, s8                                      // 00000000355C: 80080848
	s_addc_u32 s9, s74, s9                                     // 000000003560: 8209094A
	s_mul_i32 s72, s4, s53                                     // 000000003564: 92483504
	s_mul_hi_u32 s74, s4, s53                                  // 000000003568: 964A3504
	s_and_b32 s74, s74, 0xffff                                 // 00000000356C: 864AFF4A 0000FFFF
	s_mul_i32 s73, s3, s52                                     // 000000003574: 92493403
	s_add_u32 s72, s72, s73                                    // 000000003578: 80484948
	s_add_u32 s20, s72, s20                                    // 00000000357C: 80141448
	s_addc_u32 s21, s74, s21                                   // 000000003580: 8215154A
	s_mul_i32 s72, s75, s44                                    // 000000003584: 92482C4B
	s_mul_i32 s72, s4, s72                                     // 000000003588: 92484804
	s_mul_i32 s73, s3, s44                                     // 00000000358C: 92492C03
	s_nop 0                                                    // 000000003590: BF800000
	s_add_i32 s72, s72, s73                                    // 000000003594: 81484948
	s_add_u32 s24, s72, s24                                    // 000000003598: 80181848
	s_addc_u32 s25, 0, s25                                     // 00000000359C: 82191980
	s_mul_i32 s72, s4, s47                                     // 0000000035A0: 92482F04
	s_mul_hi_u32 s74, s4, s47                                  // 0000000035A4: 964A2F04
	s_and_b32 s74, s74, 0xffff                                 // 0000000035A8: 864AFF4A 0000FFFF
	s_mul_i32 s73, s39, s46                                    // 0000000035B0: 92492E27
	s_add_u32 s72, s72, s73                                    // 0000000035B4: 80484948
	s_add_u32 s12, s72, s12                                    // 0000000035B8: 800C0C48
	s_addc_u32 s13, s74, s13                                   // 0000000035BC: 820D0D4A
	s_mul_i32 s72, s4, s50                                     // 0000000035C0: 92483204
	s_mul_hi_u32 s74, s4, s50                                  // 0000000035C4: 964A3204
	s_and_b32 s74, s74, 0xffff                                 // 0000000035C8: 864AFF4A 0000FFFF
	s_mul_i32 s73, s39, s49                                    // 0000000035D0: 92493127
	s_add_u32 s72, s72, s73                                    // 0000000035D4: 80484948
	s_add_u32 s16, s72, s16                                    // 0000000035D8: 80101048
	s_addc_u32 s17, s74, s17                                   // 0000000035DC: 8211114A
	s_mov_b32 s62, 0                                           // 0000000035E0: BEBE0080
	s_mov_b32 s63, 0x80                                        // 0000000035E4: BEBF00FF 00000080
	s_mov_b32 s66, 0                                           // 0000000035EC: BEC20080
	s_mov_b32 s30, 0x3fb8aa3b                                  // 0000000035F0: BE9E00FF 3FB8AA3B
	v_mov_b32_e32 v225, 0xff800000                             // 0000000035F8: 7FC202FF FF800000
	s_lshr_b32 s65, s38, 7                                     // 000000003600: 8F418726
	s_lshl_b32 s65, s65, 7                                     // 000000003604: 8E418741
	v_lshrrev_b32_e32 v241, 5, v0                              // 000000003608: 21E20085
	v_mul_i32_i24_e32 v241, 4, v241                            // 00000000360C: 0DE3E284
	s_mov_b32 s60, s38                                         // 000000003610: BEBC0026
	s_mov_b32 s61, 0                                           // 000000003614: BEBD0080
	v_mov_b32_e32 v227, s30                                    // 000000003618: 7FC6021E
	v_mov_b32_e32 v226, s6                                     // 00000000361C: 7FC40206
	v_mul_f32_e32 v226, s30, v226                              // 000000003620: 0BC5C41E
	v_rcp_f32_e32 v227, v227                                   // 000000003624: 7FC645E3
	v_mov_b32_e32 v232, 0                                      // 000000003628: 7FD00280
	v_mov_b32_e32 v233, 0xff7fffff                             // 00000000362C: 7FD202FF FF7FFFFF
	v_mov_b32_e32 v230, 0                                      // 000000003634: 7FCC0280
	v_readfirstlane_b32 s32, v226                              // 000000003638: 7E4005E2
	v_readfirstlane_b32 s31, v227                              // 00000000363C: 7E3E05E3
	v_rcp_f32_e32 v226, v226                                   // 000000003640: 7FC445E2
	s_nop 0                                                    // 000000003644: BF800000
	v_mul_f32_e32 v226, v233, v226                             // 000000003648: 0BC5C5E9
	v_max_f32_e32 v233, v233, v226                             // 00000000364C: 17D3C5E9
	s_mul_i32 s67, s2, s43                                     // 000000003650: 92432B02
	v_lshrrev_b32_e32 v226, 3, v0                              // 000000003654: 21C40083
	v_and_b32_e32 v227, 1, v226                                // 000000003658: 27C7C481
	v_mul_i32_i24_e32 v227, s40, v227                          // 00000000365C: 0DC7C628
	v_lshrrev_b32_e32 v228, 1, v226                            // 000000003660: 21C9C481
	v_mul_i32_i24_e32 v228, s40, v228                          // 000000003664: 0DC9C828
	v_mul_i32_i24_e32 v228, 32, v228                           // 000000003668: 0DC9C8A0
	v_and_b32_e32 v226, 7, v0                                  // 00000000366C: 27C40087
	v_lshlrev_b32_e32 v226, 4, v226                            // 000000003670: 25C5C484
	s_mul_i32 s72, s5, s40                                     // 000000003674: 92482805
	s_mul_i32 s72, 2, s72                                      // 000000003678: 92484882
	s_add_u32 s72, s67, s72                                    // 00000000367C: 80484843
	v_add_u32_e32 v7, s72, v226                                // 000000003680: 680FC448
	v_add_u32_e32 v7, v227, v7                                 // 000000003684: 680E0FE3
	v_add_u32_e32 v7, v228, v7                                 // 000000003688: 680E0FE4
	s_mul_i32 s72, 8, s40                                      // 00000000368C: 92482888
	v_add_u32_e32 v8, s72, v7                                  // 000000003690: 68100E48
	v_add_u32_e32 v9, s72, v8                                  // 000000003694: 68121048
	v_add_u32_e32 v10, s72, v9                                 // 000000003698: 68141248
	s_mul_i32 s72, 0x408, s5                                   // 00000000369C: 924805FF 00000408
	s_add_u32 s72, 0xc300, s72                                 // 0000000036A4: 804848FF 0000C300
	s_mov_b32 m0, s72                                          // 0000000036AC: BEFC0048
	buffer_load_dwordx4 v7, s[8:11], 0 offen lds               // 0000000036B0: E05D1000 80020007
	s_add_u32 m0, 0x1020, m0                                   // 0000000036B8: 807C7CFF 00001020
	v_add_u32_e32 v7, 0x80, v7                                 // 0000000036C0: 680E0EFF 00000080
	v_mov_b32_e32 v160, 0                                      // 0000000036C8: 7F400280
	v_mov_b32_e32 v161, 0                                      // 0000000036CC: 7F420280
	v_mov_b32_e32 v162, 0                                      // 0000000036D0: 7F440280
	v_mov_b32_e32 v163, 0                                      // 0000000036D4: 7F460280
	v_mov_b32_e32 v164, 0                                      // 0000000036D8: 7F480280
	v_mov_b32_e32 v165, 0                                      // 0000000036DC: 7F4A0280
	v_mov_b32_e32 v166, 0                                      // 0000000036E0: 7F4C0280
	v_mov_b32_e32 v167, 0                                      // 0000000036E4: 7F4E0280
	v_mov_b32_e32 v168, 0                                      // 0000000036E8: 7F500280
	v_mov_b32_e32 v169, 0                                      // 0000000036EC: 7F520280
	v_mov_b32_e32 v170, 0                                      // 0000000036F0: 7F540280
	v_mov_b32_e32 v171, 0                                      // 0000000036F4: 7F560280
	v_mov_b32_e32 v172, 0                                      // 0000000036F8: 7F580280
	v_mov_b32_e32 v173, 0                                      // 0000000036FC: 7F5A0280
	v_mov_b32_e32 v174, 0                                      // 000000003700: 7F5C0280
	v_mov_b32_e32 v175, 0                                      // 000000003704: 7F5E0280
	buffer_load_dwordx4 v8, s[8:11], 0 offen lds               // 000000003708: E05D1000 80020008
	s_add_u32 m0, 0x1020, m0                                   // 000000003710: 807C7CFF 00001020
	v_add_u32_e32 v8, 0x80, v8                                 // 000000003718: 681010FF 00000080
	v_mov_b32_e32 v176, 0                                      // 000000003720: 7F600280
	v_mov_b32_e32 v177, 0                                      // 000000003724: 7F620280
	v_mov_b32_e32 v178, 0                                      // 000000003728: 7F640280
	v_mov_b32_e32 v179, 0                                      // 00000000372C: 7F660280
	v_mov_b32_e32 v180, 0                                      // 000000003730: 7F680280
	v_mov_b32_e32 v181, 0                                      // 000000003734: 7F6A0280
	v_mov_b32_e32 v182, 0                                      // 000000003738: 7F6C0280
	v_mov_b32_e32 v183, 0                                      // 00000000373C: 7F6E0280
	v_mov_b32_e32 v184, 0                                      // 000000003740: 7F700280
	v_mov_b32_e32 v185, 0                                      // 000000003744: 7F720280
	v_mov_b32_e32 v186, 0                                      // 000000003748: 7F740280
	v_mov_b32_e32 v187, 0                                      // 00000000374C: 7F760280
	v_mov_b32_e32 v188, 0                                      // 000000003750: 7F780280
	v_mov_b32_e32 v189, 0                                      // 000000003754: 7F7A0280
	v_mov_b32_e32 v190, 0                                      // 000000003758: 7F7C0280
	v_mov_b32_e32 v191, 0                                      // 00000000375C: 7F7E0280
	buffer_load_dwordx4 v9, s[8:11], 0 offen lds               // 000000003760: E05D1000 80020009
	s_add_u32 m0, 0x1020, m0                                   // 000000003768: 807C7CFF 00001020
	v_add_u32_e32 v9, 0x80, v9                                 // 000000003770: 681212FF 00000080
	v_mov_b32_e32 v192, 0                                      // 000000003778: 7F800280
	v_mov_b32_e32 v193, 0                                      // 00000000377C: 7F820280
	v_mov_b32_e32 v194, 0                                      // 000000003780: 7F840280
	v_mov_b32_e32 v195, 0                                      // 000000003784: 7F860280
	v_mov_b32_e32 v196, 0                                      // 000000003788: 7F880280
	v_mov_b32_e32 v197, 0                                      // 00000000378C: 7F8A0280
	v_mov_b32_e32 v198, 0                                      // 000000003790: 7F8C0280
	v_mov_b32_e32 v199, 0                                      // 000000003794: 7F8E0280
	v_mov_b32_e32 v200, 0                                      // 000000003798: 7F900280
	v_mov_b32_e32 v201, 0                                      // 00000000379C: 7F920280
	v_mov_b32_e32 v202, 0                                      // 0000000037A0: 7F940280
	v_mov_b32_e32 v203, 0                                      // 0000000037A4: 7F960280
	v_mov_b32_e32 v204, 0                                      // 0000000037A8: 7F980280
	v_mov_b32_e32 v205, 0                                      // 0000000037AC: 7F9A0280
	v_mov_b32_e32 v206, 0                                      // 0000000037B0: 7F9C0280
	v_mov_b32_e32 v207, 0                                      // 0000000037B4: 7F9E0280
	buffer_load_dwordx4 v10, s[8:11], 0 offen lds              // 0000000037B8: E05D1000 8002000A
	s_add_u32 m0, 0x1020, m0                                   // 0000000037C0: 807C7CFF 00001020
	v_add_u32_e32 v10, 0x80, v10                               // 0000000037C8: 681414FF 00000080
	v_mov_b32_e32 v208, 0                                      // 0000000037D0: 7FA00280
	v_mov_b32_e32 v209, 0                                      // 0000000037D4: 7FA20280
	v_mov_b32_e32 v210, 0                                      // 0000000037D8: 7FA40280
	v_mov_b32_e32 v211, 0                                      // 0000000037DC: 7FA60280
	v_mov_b32_e32 v212, 0                                      // 0000000037E0: 7FA80280
	v_mov_b32_e32 v213, 0                                      // 0000000037E4: 7FAA0280
	v_mov_b32_e32 v214, 0                                      // 0000000037E8: 7FAC0280
	v_mov_b32_e32 v215, 0                                      // 0000000037EC: 7FAE0280
	v_mov_b32_e32 v216, 0                                      // 0000000037F0: 7FB00280
	v_mov_b32_e32 v217, 0                                      // 0000000037F4: 7FB20280
	v_mov_b32_e32 v218, 0                                      // 0000000037F8: 7FB40280
	v_mov_b32_e32 v219, 0                                      // 0000000037FC: 7FB60280
	v_mov_b32_e32 v220, 0                                      // 000000003800: 7FB80280
	v_mov_b32_e32 v221, 0                                      // 000000003804: 7FBA0280
	v_mov_b32_e32 v222, 0                                      // 000000003808: 7FBC0280
	v_mov_b32_e32 v223, 0                                      // 00000000380C: 7FBE0280
	buffer_load_dwordx4 v7, s[8:11], 0 offen lds               // 000000003810: E05D1000 80020007
	s_add_u32 m0, 0x1020, m0                                   // 000000003818: 807C7CFF 00001020
	v_add_u32_e32 v7, 0x80, v7                                 // 000000003820: 680E0EFF 00000080
	buffer_load_dwordx4 v8, s[8:11], 0 offen lds               // 000000003828: E05D1000 80020008
	s_add_u32 m0, 0x1020, m0                                   // 000000003830: 807C7CFF 00001020
	v_add_u32_e32 v8, 0x80, v8                                 // 000000003838: 681010FF 00000080
	buffer_load_dwordx4 v9, s[8:11], 0 offen lds               // 000000003840: E05D1000 80020009
	s_add_u32 m0, 0x1020, m0                                   // 000000003848: 807C7CFF 00001020
	v_add_u32_e32 v9, 0x80, v9                                 // 000000003850: 681212FF 00000080
	buffer_load_dwordx4 v10, s[8:11], 0 offen lds              // 000000003858: E05D1000 8002000A
	s_add_u32 m0, 0x1020, m0                                   // 000000003860: 807C7CFF 00001020
	v_add_u32_e32 v10, 0x80, v10                               // 000000003868: 681414FF 00000080
	buffer_load_dwordx4 v7, s[8:11], 0 offen lds               // 000000003870: E05D1000 80020007
	s_add_u32 m0, 0x1020, m0                                   // 000000003878: 807C7CFF 00001020
	v_add_u32_e32 v7, 0x80, v7                                 // 000000003880: 680E0EFF 00000080
	buffer_load_dwordx4 v8, s[8:11], 0 offen lds               // 000000003888: E05D1000 80020008
	s_add_u32 m0, 0x1020, m0                                   // 000000003890: 807C7CFF 00001020
	v_add_u32_e32 v8, 0x80, v8                                 // 000000003898: 681010FF 00000080
	buffer_load_dwordx4 v9, s[8:11], 0 offen lds               // 0000000038A0: E05D1000 80020009
	s_add_u32 m0, 0x1020, m0                                   // 0000000038A8: 807C7CFF 00001020
	v_add_u32_e32 v9, 0x80, v9                                 // 0000000038B0: 681212FF 00000080
	buffer_load_dwordx4 v10, s[8:11], 0 offen lds              // 0000000038B8: E05D1000 8002000A
	s_add_u32 m0, 0x1020, m0                                   // 0000000038C0: 807C7CFF 00001020
	v_add_u32_e32 v10, 0x80, v10                               // 0000000038C8: 681414FF 00000080
	s_cmp_le_u32 s38, 0                                        // 0000000038D0: BF0B8026
	s_cbranch_scc1 label_1C5A                                  // 0000000038D4: BF851AE4
	v_and_b32_e32 v226, 31, v0                                 // 0000000038D8: 27C4009F
	v_and_b32_e32 v227, 1, v226                                // 0000000038DC: 27C7C481
	v_mul_i32_i24_e32 v227, 0x80, v227                         // 0000000038E0: 0DC7C6FF 00000080
	v_lshrrev_b32_e32 v228, 1, v226                            // 0000000038E8: 21C9C481
	v_mul_i32_i24_e32 v228, 0x408, v228                        // 0000000038EC: 0DC9C8FF 00000408
	v_lshrrev_b32_e32 v226, 5, v0                              // 0000000038F4: 21C40085
	v_mul_i32_i24_e32 v226, 16, v226                           // 0000000038F8: 0DC5C490
	v_add_u32_e32 v2, v226, v227                               // 0000000038FC: 6805C7E2
	v_add_u32_e32 v2, v228, v2                                 // 000000003900: 680405E4
	v_add_u32_e32 v2, 0xc300, v2                               // 000000003904: 680404FF 0000C300
	s_and_b32 s72, 3, s5                                       // 00000000390C: 86480583
	s_mul_i32 s72, s72, 0x100                                  // 000000003910: 9248FF48 00000100
	v_add_u32_e32 v2, s72, v2                                  // 000000003918: 68040448
	s_lshr_b32 s72, s5, 2                                      // 00000000391C: 8F488205
	s_mul_i32 s72, s72, 0x8100                                 // 000000003920: 9248FF48 00008100
	v_add_u32_e32 v2, s72, v2                                  // 000000003928: 68040448
	v_add_u32_e32 v3, 0x4080, v2                               // 00000000392C: 680604FF 00004080
	v_add_u32_e32 v4, 0x4080, v3                               // 000000003934: 680806FF 00004080
	v_lshrrev_b32_e32 v226, 5, v0                              // 00000000393C: 21C40085
	v_mul_i32_i24_e32 v27, 16, v226                            // 000000003940: 0C37C490
	v_and_b32_e32 v226, 31, v0                                 // 000000003944: 27C4009F
	v_lshrrev_b32_e32 v226, 2, v226                            // 000000003948: 21C5C482
	v_and_b32_e32 v227, 1, v226                                // 00000000394C: 27C7C481
	v_mul_i32_i24_e32 v227, 0x100, v227                        // 000000003950: 0DC7C6FF 00000100
	v_lshrrev_b32_e32 v226, 1, v226                            // 000000003958: 21C5C481
	v_mul_i32_i24_e32 v226, 2, v226                            // 00000000395C: 0DC5C482
	v_mul_i32_i24_e32 v226, 0x410, v226                        // 000000003960: 0DC5C4FF 00000410
	v_add_u32_e32 v27, v27, v226                               // 000000003968: 6837C51B
	v_add_u32_e32 v27, v27, v227                               // 00000000396C: 6837C71B
	v_and_b32_e32 v226, 3, v0                                  // 000000003970: 27C40083
	v_and_b32_e32 v227, 1, v226                                // 000000003974: 27C7C481
	v_mul_i32_i24_e32 v227, 0x80, v227                         // 000000003978: 0DC7C6FF 00000080
	v_lshrrev_b32_e32 v226, 1, v226                            // 000000003980: 21C5C481
	v_mul_i32_i24_e32 v226, 0x410, v226                        // 000000003984: 0DC5C4FF 00000410
	v_add_u32_e32 v27, v27, v226                               // 00000000398C: 6837C51B
	v_add_u32_e32 v27, v27, v227                               // 000000003990: 6837C71B
	v_add_u32_e32 v27, 0, v27                                  // 000000003994: 68363680
	v_add_u32_e32 v28, 0x2080, v27                             // 000000003998: 683836FF 00002080
	v_add_u32_e32 v29, 0x2080, v28                             // 0000000039A0: 683A38FF 00002080
	v_lshrrev_b32_e32 v226, 2, v0                              // 0000000039A8: 21C40082
	v_and_b32_e32 v226, 3, v226                                // 0000000039AC: 27C5C483
	v_and_b32_e32 v227, 1, v226                                // 0000000039B0: 27C7C481
	v_mul_i32_i24_e32 v227, 0x80, v227                         // 0000000039B4: 0DC7C6FF 00000080
	v_lshrrev_b32_e32 v226, 1, v226                            // 0000000039BC: 21C5C481
	v_mul_i32_i24_e32 v226, 0x440, v226                        // 0000000039C0: 0DC5C4FF 00000440
	v_add_u32_e32 v30, v227, v226                              // 0000000039C8: 683DC5E3
	v_and_b32_e32 v226, 3, v0                                  // 0000000039CC: 27C40083
	v_mul_i32_i24_e32 v226, 8, v226                            // 0000000039D0: 0DC5C488
	v_add_u32_e32 v30, v226, v30                               // 0000000039D4: 683C3DE2
	v_lshrrev_b32_e32 v226, 4, v0                              // 0000000039D8: 21C40084
	v_and_b32_e32 v227, 1, v226                                // 0000000039DC: 27C7C481
	v_mul_i32_i24_e32 v227, 32, v227                           // 0000000039E0: 0DC7C6A0
	v_add_u32_e32 v30, v227, v30                               // 0000000039E4: 683C3DE3
	v_lshrrev_b32_e32 v227, 1, v226                            // 0000000039E8: 21C7C481
	v_mul_i32_i24_e32 v227, 0x100, v227                        // 0000000039EC: 0DC7C6FF 00000100
	v_add_u32_e32 v30, v227, v30                               // 0000000039F4: 683C3DE3
	v_add_u32_e32 v30, 0xc300, v30                             // 0000000039F8: 683C3CFF 0000C300
	v_add_u32_e32 v31, 0x2200, v30                             // 000000003A00: 683E3CFF 00002200
	v_lshrrev_b32_e32 v226, 3, v0                              // 000000003A08: 21C40083
	v_lshrrev_b32_e32 v227, 2, v226                            // 000000003A0C: 21C7C482
	v_lshlrev_b32_e32 v227, 5, v227                            // 000000003A10: 25C7C685
	v_and_b32_e32 v226, 3, v226                                // 000000003A14: 27C5C483
	v_lshrrev_b32_e32 v226, 1, v226                            // 000000003A18: 21C5C481
	v_lshlrev_b32_e32 v226, 2, v226                            // 000000003A1C: 25C5C482
	v_add_u32_e32 v227, v227, v226                             // 000000003A20: 69C7C5E3
	v_lshrrev_b32_e32 v226, 3, v0                              // 000000003A24: 21C40083
	v_and_b32_e32 v226, 1, v226                                // 000000003A28: 27C5C481
	v_add_u32_e32 v226, v227, v226                             // 000000003A2C: 69C5C5E3
	v_mul_i32_i24_e32 v226, s45, v226                          // 000000003A30: 0DC5C42D
	v_and_b32_e32 v7, 7, v0                                    // 000000003A34: 260E0087
	v_lshlrev_b32_e32 v7, 4, v7                                // 000000003A38: 240E0E84
	v_add_u32_e32 v7, v226, v7                                 // 000000003A3C: 680E0FE2
	s_and_b32 s72, 1, s5                                       // 000000003A40: 86480581
	s_mul_i32 s72, s72, s45                                    // 000000003A44: 92482D48
	s_mul_i32 s72, s72, 2                                      // 000000003A48: 92488248
	s_and_b32 s74, 3, s5                                       // 000000003A4C: 864A0583
	s_lshr_b32 s73, s74, 1                                     // 000000003A50: 8F49814A
	s_mul_i32 s73, s73, s45                                    // 000000003A54: 92492D49
	s_mul_i32 s73, s73, 8                                      // 000000003A58: 92498849
	s_add_u32 s72, s73, s72                                    // 000000003A5C: 80484849
	v_add_u32_e32 v7, s72, v7                                  // 000000003A60: 680E0E48
	s_mul_i32 s72, 16, s45                                     // 000000003A64: 92482D90
	v_add_u32_e32 v8, s72, v7                                  // 000000003A68: 68100E48
	v_add_u32_e32 v9, 0x80, v7                                 // 000000003A6C: 68120EFF 00000080
	v_add_u32_e32 v10, 0x80, v8                                // 000000003A74: 681410FF 00000080
	v_add_u32_e32 v11, 0x80, v9                                // 000000003A7C: 681612FF 00000080
	v_add_u32_e32 v12, 0x80, v10                               // 000000003A84: 681814FF 00000080
	s_mul_i32 s72, 64, s45                                     // 000000003A8C: 92482DC0
	v_add_u32_e64 v13, v7, s72                                 // 000000003A90: D134000D 00009107
	v_add_u32_e64 v14, v8, s72                                 // 000000003A98: D134000E 00009108
	v_add_u32_e64 v15, v9, s72                                 // 000000003AA0: D134000F 00009109
	v_add_u32_e64 v16, v10, s72                                // 000000003AA8: D1340010 0000910A
	v_add_u32_e64 v17, v11, s72                                // 000000003AB0: D1340011 0000910B
	v_add_u32_e64 v18, v12, s72                                // 000000003AB8: D1340012 0000910C
	s_mul_i32 s33, 0x410, s5                                   // 000000003AC0: 922105FF 00000410
	s_add_u32 s33, 0, s33                                      // 000000003AC8: 80212180
	s_add_u32 s34, 0x6180, s33                                 // 000000003ACC: 802221FF 00006180
	v_lshrrev_b32_e32 v226, 3, v0                              // 000000003AD4: 21C40083
	v_lshrrev_b32_e32 v227, 1, v226                            // 000000003AD8: 21C7C481
	v_lshlrev_b32_e32 v227, 2, v227                            // 000000003ADC: 25C7C682
	v_and_b32_e32 v228, 1, v226                                // 000000003AE0: 27C9C481
	v_add_u32_e32 v227, v228, v227                             // 000000003AE4: 69C7C7E4
	v_mul_i32_i24_e32 v227, s48, v227                          // 000000003AE8: 0DC7C630
	v_and_b32_e32 v226, 7, v0                                  // 000000003AEC: 27C40087
	v_lshlrev_b32_e32 v226, 4, v226                            // 000000003AF0: 25C5C484
	v_add_u32_e32 v226, v227, v226                             // 000000003AF4: 69C5C5E3
	s_and_b32 s72, 1, s5                                       // 000000003AF8: 86480581
	s_and_b32 s74, 3, s5                                       // 000000003AFC: 864A0583
	s_lshr_b32 s73, s74, 1                                     // 000000003B00: 8F49814A
	s_mul_i32 s72, s72, s48                                    // 000000003B04: 92483048
	s_mul_i32 s72, s72, 2                                      // 000000003B08: 92488248
	s_mul_i32 s73, s73, s48                                    // 000000003B0C: 92493049
	s_mul_i32 s73, s73, 16                                     // 000000003B10: 92499049
	s_add_u32 s72, s73, s72                                    // 000000003B14: 80484849
	s_mul_i32 s74, 32, s48                                     // 000000003B18: 924A30A0
	v_add_u32_e32 v19, s72, v226                               // 000000003B1C: 6827C448
	v_add_u32_e32 v20, s74, v19                                // 000000003B20: 6828264A
	v_add_u32_e32 v21, 0x80, v19                               // 000000003B24: 682A26FF 00000080
	v_add_u32_e32 v22, 0x80, v20                               // 000000003B2C: 682C28FF 00000080
	s_mul_i32 s72, 64, s48                                     // 000000003B34: 924830C0
	v_add_u32_e32 v23, s72, v19                                // 000000003B38: 682E2648
	v_add_u32_e32 v24, s72, v20                                // 000000003B3C: 68302848
	v_add_u32_e32 v25, s72, v21                                // 000000003B40: 68322A48
	v_add_u32_e32 v26, s72, v22                                // 000000003B44: 68342C48
	s_mul_i32 s35, 0x440, s5                                   // 000000003B48: 922305FF 00000440
	s_add_u32 s35, 0xc300, s35                                 // 000000003B50: 802323FF 0000C300
	s_add_u32 s36, 0x4400, s35                                 // 000000003B58: 802423FF 00004400
	s_nop 0                                                    // 000000003B60: BF800000
	s_mov_b32 m0, s33                                          // 000000003B64: BEFC0021
	buffer_load_dwordx4 v7, s[12:15], s56 offen lds            // 000000003B68: E05D1000 38030007
	s_add_u32 m0, 0x1040, m0                                   // 000000003B70: 807C7CFF 00001040
	buffer_load_dwordx4 v8, s[12:15], s56 offen lds            // 000000003B78: E05D1000 38030008
	s_add_u32 m0, 0x1040, m0                                   // 000000003B80: 807C7CFF 00001040
	buffer_load_dwordx4 v9, s[12:15], s56 offen lds            // 000000003B88: E05D1000 38030009
	s_add_u32 m0, 0x1040, m0                                   // 000000003B90: 807C7CFF 00001040
	buffer_load_dwordx4 v10, s[12:15], s56 offen lds           // 000000003B98: E05D1000 3803000A
	s_add_u32 m0, 0x1040, m0                                   // 000000003BA0: 807C7CFF 00001040
	buffer_load_dwordx4 v11, s[12:15], s56 offen lds           // 000000003BA8: E05D1000 3803000B
	s_add_u32 m0, 0x1040, m0                                   // 000000003BB0: 807C7CFF 00001040
	buffer_load_dwordx4 v12, s[12:15], s56 offen lds           // 000000003BB8: E05D1000 3803000C
	s_add_u32 m0, 0x1040, m0                                   // 000000003BC0: 807C7CFF 00001040
	s_waitcnt vmcnt(6)                                         // 000000003BC8: BF8C0F76
	s_barrier                                                  // 000000003BCC: BF8A0000
	ds_read_b64 a[0:1], v2                                     // 000000003BD0: DAEC0000 00000002
	ds_read_b64 a[2:3], v2 offset:8                            // 000000003BD8: DAEC0008 02000002
	ds_read_b64 a[4:5], v2 offset:32                           // 000000003BE0: DAEC0020 04000002
	ds_read_b64 a[6:7], v2 offset:40                           // 000000003BE8: DAEC0028 06000002
	ds_read_b64 a[8:9], v2 offset:64                           // 000000003BF0: DAEC0040 08000002
	ds_read_b64 a[10:11], v2 offset:72                         // 000000003BF8: DAEC0048 0A000002
	ds_read_b64 a[12:13], v2 offset:96                         // 000000003C00: DAEC0060 0C000002
	ds_read_b64 a[14:15], v2 offset:104                        // 000000003C08: DAEC0068 0E000002
	ds_read_b64 a[16:17], v3                                   // 000000003C10: DAEC0000 10000003
	ds_read_b64 a[18:19], v3 offset:8                          // 000000003C18: DAEC0008 12000003
	ds_read_b64 a[20:21], v3 offset:32                         // 000000003C20: DAEC0020 14000003
	ds_read_b64 a[22:23], v3 offset:40                         // 000000003C28: DAEC0028 16000003
	ds_read_b64 a[24:25], v3 offset:64                         // 000000003C30: DAEC0040 18000003
	ds_read_b64 a[26:27], v3 offset:72                         // 000000003C38: DAEC0048 1A000003
	ds_read_b64 a[28:29], v3 offset:96                         // 000000003C40: DAEC0060 1C000003
	ds_read_b64 a[30:31], v3 offset:104                        // 000000003C48: DAEC0068 1E000003
	ds_read_b64 a[32:33], v4                                   // 000000003C50: DAEC0000 20000004
	ds_read_b64 a[34:35], v4 offset:8                          // 000000003C58: DAEC0008 22000004
	ds_read_b64 a[36:37], v4 offset:32                         // 000000003C60: DAEC0020 24000004
	ds_read_b64 a[38:39], v4 offset:40                         // 000000003C68: DAEC0028 26000004
	ds_read_b64 a[40:41], v4 offset:64                         // 000000003C70: DAEC0040 28000004
	ds_read_b64 a[42:43], v4 offset:72                         // 000000003C78: DAEC0048 2A000004
	ds_read_b64 a[44:45], v4 offset:96                         // 000000003C80: DAEC0060 2C000004
	ds_read_b64 a[46:47], v4 offset:104                        // 000000003C88: DAEC0068 2E000004
	s_waitcnt vmcnt(0)                                         // 000000003C90: BF8C0F70
	s_barrier                                                  // 000000003C94: BF8A0000
	ds_read_b128 a[48:51], v27                                 // 000000003C98: DBFE0000 3000001B
	ds_read_b128 a[52:55], v27 offset:32                       // 000000003CA0: DBFE0020 3400001B
	ds_read_b128 a[56:59], v27 offset:64                       // 000000003CA8: DBFE0040 3800001B
	ds_read_b128 a[60:63], v27 offset:96                       // 000000003CB0: DBFE0060 3C00001B
	ds_read_b128 a[64:67], v28                                 // 000000003CB8: DBFE0000 4000001C
	ds_read_b128 a[68:71], v28 offset:32                       // 000000003CC0: DBFE0020 4400001C
	ds_read_b128 a[72:75], v28 offset:64                       // 000000003CC8: DBFE0040 4800001C
	ds_read_b128 a[76:79], v28 offset:96                       // 000000003CD0: DBFE0060 4C00001C
	ds_read_b128 a[80:83], v29                                 // 000000003CD8: DBFE0000 5000001D
	ds_read_b128 a[84:87], v29 offset:32                       // 000000003CE0: DBFE0020 5400001D
	ds_read_b128 a[88:91], v29 offset:64                       // 000000003CE8: DBFE0040 5800001D
	ds_read_b128 a[92:95], v29 offset:96                       // 000000003CF0: DBFE0060 5C00001D
	ds_read_b128 a[96:99], v27 offset:512                      // 000000003CF8: DBFE0200 6000001B
	ds_read_b128 a[100:103], v27 offset:544                    // 000000003D00: DBFE0220 6400001B
	ds_read_b128 a[104:107], v27 offset:576                    // 000000003D08: DBFE0240 6800001B
	ds_read_b128 a[108:111], v27 offset:608                    // 000000003D10: DBFE0260 6C00001B
	ds_read_b128 a[112:115], v28 offset:512                    // 000000003D18: DBFE0200 7000001C
	ds_read_b128 a[116:119], v28 offset:544                    // 000000003D20: DBFE0220 7400001C
	ds_read_b128 a[120:123], v28 offset:576                    // 000000003D28: DBFE0240 7800001C
	ds_read_b128 a[124:127], v28 offset:608                    // 000000003D30: DBFE0260 7C00001C
	ds_read_b128 a[128:131], v29 offset:512                    // 000000003D38: DBFE0200 8000001D
	ds_read_b128 a[132:135], v29 offset:544                    // 000000003D40: DBFE0220 8400001D
	ds_read_b128 a[136:139], v29 offset:576                    // 000000003D48: DBFE0240 8800001D
	ds_read_b128 a[140:143], v29 offset:608                    // 000000003D50: DBFE0260 8C00001D
	s_waitcnt lgkmcnt(0)                                       // 000000003D58: BF8CC07F
	s_mov_b32 m0, s34                                          // 000000003D5C: BEFC0022
	v_mfma_f32_32x32x16_bf16 v[32:47], a[48:51], a[0:3], 0     // 000000003D60: D3B70020 1A020130
	buffer_load_dwordx4 v13, s[12:15], s56 offen lds           // 000000003D68: E05D1000 3803000D
	v_mfma_f32_32x32x16_bf16 v[32:47], a[52:55], a[4:7], v[32:47]// 000000003D70: D3B70020 1C820934
	s_add_u32 m0, 0x1040, m0                                   // 000000003D78: 807C7CFF 00001040
	v_mfma_f32_32x32x16_bf16 v[32:47], a[56:59], a[8:11], v[32:47]// 000000003D80: D3B70020 1C821138
	buffer_load_dwordx4 v14, s[12:15], s56 offen lds           // 000000003D88: E05D1000 3803000E
	v_mfma_f32_32x32x16_bf16 v[32:47], a[60:63], a[12:15], v[32:47]// 000000003D90: D3B70020 1C82193C
	s_add_u32 m0, 0x1040, m0                                   // 000000003D98: 807C7CFF 00001040
	v_mfma_f32_32x32x16_bf16 v[32:47], a[64:67], a[16:19], v[32:47]// 000000003DA0: D3B70020 1C822140
	buffer_load_dwordx4 v15, s[12:15], s56 offen lds           // 000000003DA8: E05D1000 3803000F
	v_mfma_f32_32x32x16_bf16 v[32:47], a[68:71], a[20:23], v[32:47]// 000000003DB0: D3B70020 1C822944
	s_add_u32 m0, 0x1040, m0                                   // 000000003DB8: 807C7CFF 00001040
	v_mfma_f32_32x32x16_bf16 v[32:47], a[72:75], a[24:27], v[32:47]// 000000003DC0: D3B70020 1C823148
	buffer_load_dwordx4 v16, s[12:15], s56 offen lds           // 000000003DC8: E05D1000 38030010
	v_mfma_f32_32x32x16_bf16 v[32:47], a[76:79], a[28:31], v[32:47]// 000000003DD0: D3B70020 1C82394C
	s_add_u32 m0, 0x1040, m0                                   // 000000003DD8: 807C7CFF 00001040
	v_mfma_f32_32x32x16_bf16 v[32:47], a[80:83], a[32:35], v[32:47]// 000000003DE0: D3B70020 1C824150
	buffer_load_dwordx4 v17, s[12:15], s56 offen lds           // 000000003DE8: E05D1000 38030011
	v_mfma_f32_32x32x16_bf16 v[32:47], a[84:87], a[36:39], v[32:47]// 000000003DF0: D3B70020 1C824954
	s_add_u32 m0, 0x1040, m0                                   // 000000003DF8: 807C7CFF 00001040
	v_mfma_f32_32x32x16_bf16 v[32:47], a[88:91], a[40:43], v[32:47]// 000000003E00: D3B70020 1C825158
	buffer_load_dwordx4 v18, s[12:15], s56 offen lds           // 000000003E08: E05D1000 38030012
	v_mfma_f32_32x32x16_bf16 v[32:47], a[92:95], a[44:47], v[32:47]// 000000003E10: D3B70020 1C82595C
	s_add_u32 m0, 0x1040, m0                                   // 000000003E18: 807C7CFF 00001040
	v_mfma_f32_32x32x16_bf16 v[48:63], a[96:99], a[0:3], 0     // 000000003E20: D3B70030 1A020160
	s_add_i32 s56, s58, s56                                    // 000000003E28: 8138383A
	s_mov_b32 m0, s33                                          // 000000003E2C: BEFC0021
	buffer_load_dwordx4 v7, s[12:15], s56 offen lds            // 000000003E30: E05D1000 38030007
	v_mfma_f32_32x32x16_bf16 v[48:63], a[100:103], a[4:7], v[48:63]// 000000003E38: D3B70030 1CC20964
	s_add_u32 m0, 0x1040, m0                                   // 000000003E40: 807C7CFF 00001040
	v_mfma_f32_32x32x16_bf16 v[48:63], a[104:107], a[8:11], v[48:63]// 000000003E48: D3B70030 1CC21168
	buffer_load_dwordx4 v8, s[12:15], s56 offen lds            // 000000003E50: E05D1000 38030008
	v_mfma_f32_32x32x16_bf16 v[48:63], a[108:111], a[12:15], v[48:63]// 000000003E58: D3B70030 1CC2196C
	s_add_u32 m0, 0x1040, m0                                   // 000000003E60: 807C7CFF 00001040
	v_mfma_f32_32x32x16_bf16 v[48:63], a[112:115], a[16:19], v[48:63]// 000000003E68: D3B70030 1CC22170
	buffer_load_dwordx4 v9, s[12:15], s56 offen lds            // 000000003E70: E05D1000 38030009
	v_mfma_f32_32x32x16_bf16 v[48:63], a[116:119], a[20:23], v[48:63]// 000000003E78: D3B70030 1CC22974
	s_add_u32 m0, 0x1040, m0                                   // 000000003E80: 807C7CFF 00001040
	v_mfma_f32_32x32x16_bf16 v[48:63], a[120:123], a[24:27], v[48:63]// 000000003E88: D3B70030 1CC23178
	buffer_load_dwordx4 v10, s[12:15], s56 offen lds           // 000000003E90: E05D1000 3803000A
	v_mfma_f32_32x32x16_bf16 v[48:63], a[124:127], a[28:31], v[48:63]// 000000003E98: D3B70030 1CC2397C
	s_add_u32 m0, 0x1040, m0                                   // 000000003EA0: 807C7CFF 00001040
	v_mfma_f32_32x32x16_bf16 v[48:63], a[128:131], a[32:35], v[48:63]// 000000003EA8: D3B70030 1CC24180
	buffer_load_dwordx4 v11, s[12:15], s56 offen lds           // 000000003EB0: E05D1000 3803000B
	v_mfma_f32_32x32x16_bf16 v[48:63], a[132:135], a[36:39], v[48:63]// 000000003EB8: D3B70030 1CC24984
	s_add_u32 m0, 0x1040, m0                                   // 000000003EC0: 807C7CFF 00001040
	v_mfma_f32_32x32x16_bf16 v[48:63], a[136:139], a[40:43], v[48:63]// 000000003EC8: D3B70030 1CC25188
	buffer_load_dwordx4 v12, s[12:15], s56 offen lds           // 000000003ED0: E05D1000 3803000C
	v_mfma_f32_32x32x16_bf16 v[48:63], a[140:143], a[44:47], v[48:63]// 000000003ED8: D3B70030 1CC2598C
	s_add_u32 m0, 0x1040, m0                                   // 000000003EE0: 807C7CFF 00001040
	s_waitcnt vmcnt(6)                                         // 000000003EE8: BF8C0F76
	s_barrier                                                  // 000000003EEC: BF8A0000
	ds_read_b128 a[48:51], v27 offset:24960                    // 000000003EF0: DBFE6180 3000001B
	ds_read_b128 a[52:55], v27 offset:24992                    // 000000003EF8: DBFE61A0 3400001B
	ds_read_b128 a[56:59], v27 offset:25024                    // 000000003F00: DBFE61C0 3800001B
	ds_read_b128 a[60:63], v27 offset:25056                    // 000000003F08: DBFE61E0 3C00001B
	ds_read_b128 a[64:67], v28 offset:24960                    // 000000003F10: DBFE6180 4000001C
	ds_read_b128 a[68:71], v28 offset:24992                    // 000000003F18: DBFE61A0 4400001C
	ds_read_b128 a[72:75], v28 offset:25024                    // 000000003F20: DBFE61C0 4800001C
	ds_read_b128 a[76:79], v28 offset:25056                    // 000000003F28: DBFE61E0 4C00001C
	ds_read_b128 a[80:83], v29 offset:24960                    // 000000003F30: DBFE6180 5000001D
	ds_read_b128 a[84:87], v29 offset:24992                    // 000000003F38: DBFE61A0 5400001D
	ds_read_b128 a[88:91], v29 offset:25024                    // 000000003F40: DBFE61C0 5800001D
	ds_read_b128 a[92:95], v29 offset:25056                    // 000000003F48: DBFE61E0 5C00001D
	ds_read_b128 a[96:99], v27 offset:25472                    // 000000003F50: DBFE6380 6000001B
	ds_read_b128 a[100:103], v27 offset:25504                  // 000000003F58: DBFE63A0 6400001B
	ds_read_b128 a[104:107], v27 offset:25536                  // 000000003F60: DBFE63C0 6800001B
	ds_read_b128 a[108:111], v27 offset:25568                  // 000000003F68: DBFE63E0 6C00001B
	ds_read_b128 a[112:115], v28 offset:25472                  // 000000003F70: DBFE6380 7000001C
	ds_read_b128 a[116:119], v28 offset:25504                  // 000000003F78: DBFE63A0 7400001C
	ds_read_b128 a[120:123], v28 offset:25536                  // 000000003F80: DBFE63C0 7800001C
	ds_read_b128 a[124:127], v28 offset:25568                  // 000000003F88: DBFE63E0 7C00001C
	ds_read_b128 a[128:131], v29 offset:25472                  // 000000003F90: DBFE6380 8000001D
	ds_read_b128 a[132:135], v29 offset:25504                  // 000000003F98: DBFE63A0 8400001D
	ds_read_b128 a[136:139], v29 offset:25536                  // 000000003FA0: DBFE63C0 8800001D
	ds_read_b128 a[140:143], v29 offset:25568                  // 000000003FA8: DBFE63E0 8C00001D
	s_waitcnt lgkmcnt(0)                                       // 000000003FB0: BF8CC07F
	s_mov_b32 m0, s34                                          // 000000003FB4: BEFC0022
	v_mfma_f32_32x32x16_bf16 v[64:79], a[48:51], a[0:3], 0     // 000000003FB8: D3B70040 1A020130
	buffer_load_dwordx4 v13, s[12:15], s56 offen lds           // 000000003FC0: E05D1000 3803000D
	v_mfma_f32_32x32x16_bf16 v[64:79], a[52:55], a[4:7], v[64:79]// 000000003FC8: D3B70040 1D020934
	s_add_u32 m0, 0x1040, m0                                   // 000000003FD0: 807C7CFF 00001040
	v_mfma_f32_32x32x16_bf16 v[64:79], a[56:59], a[8:11], v[64:79]// 000000003FD8: D3B70040 1D021138
	buffer_load_dwordx4 v14, s[12:15], s56 offen lds           // 000000003FE0: E05D1000 3803000E
	v_mfma_f32_32x32x16_bf16 v[64:79], a[60:63], a[12:15], v[64:79]// 000000003FE8: D3B70040 1D02193C
	s_add_u32 m0, 0x1040, m0                                   // 000000003FF0: 807C7CFF 00001040
	v_mfma_f32_32x32x16_bf16 v[64:79], a[64:67], a[16:19], v[64:79]// 000000003FF8: D3B70040 1D022140
	buffer_load_dwordx4 v15, s[12:15], s56 offen lds           // 000000004000: E05D1000 3803000F
	v_mfma_f32_32x32x16_bf16 v[64:79], a[68:71], a[20:23], v[64:79]// 000000004008: D3B70040 1D022944
	s_add_u32 m0, 0x1040, m0                                   // 000000004010: 807C7CFF 00001040
	v_mfma_f32_32x32x16_bf16 v[64:79], a[72:75], a[24:27], v[64:79]// 000000004018: D3B70040 1D023148
	buffer_load_dwordx4 v16, s[12:15], s56 offen lds           // 000000004020: E05D1000 38030010
	v_mfma_f32_32x32x16_bf16 v[64:79], a[76:79], a[28:31], v[64:79]// 000000004028: D3B70040 1D02394C
	s_add_u32 m0, 0x1040, m0                                   // 000000004030: 807C7CFF 00001040
	v_mfma_f32_32x32x16_bf16 v[64:79], a[80:83], a[32:35], v[64:79]// 000000004038: D3B70040 1D024150
	buffer_load_dwordx4 v17, s[12:15], s56 offen lds           // 000000004040: E05D1000 38030011
	v_mfma_f32_32x32x16_bf16 v[64:79], a[84:87], a[36:39], v[64:79]// 000000004048: D3B70040 1D024954
	s_add_u32 m0, 0x1040, m0                                   // 000000004050: 807C7CFF 00001040
	v_mfma_f32_32x32x16_bf16 v[64:79], a[88:91], a[40:43], v[64:79]// 000000004058: D3B70040 1D025158
	buffer_load_dwordx4 v18, s[12:15], s56 offen lds           // 000000004060: E05D1000 38030012
	v_mfma_f32_32x32x16_bf16 v[64:79], a[92:95], a[44:47], v[64:79]// 000000004068: D3B70040 1D02595C
	s_add_u32 m0, 0x1040, m0                                   // 000000004070: 807C7CFF 00001040
	v_mfma_f32_32x32x16_bf16 v[80:95], a[96:99], a[0:3], 0     // 000000004078: D3B70050 1A020160
	s_mov_b32 m0, s35                                          // 000000004080: BEFC0023
	s_nop 0                                                    // 000000004084: BF800000
	buffer_load_dwordx4 v19, s[16:19], s57 offen lds           // 000000004088: E05D1000 39040013
	v_mfma_f32_32x32x16_bf16 v[80:95], a[100:103], a[4:7], v[80:95]// 000000004090: D3B70050 1D420964
	s_add_u32 m0, 0x1100, m0                                   // 000000004098: 807C7CFF 00001100
	v_mfma_f32_32x32x16_bf16 v[80:95], a[104:107], a[8:11], v[80:95]// 0000000040A0: D3B70050 1D421168
	buffer_load_dwordx4 v20, s[16:19], s57 offen lds           // 0000000040A8: E05D1000 39040014
	v_mfma_f32_32x32x16_bf16 v[80:95], a[108:111], a[12:15], v[80:95]// 0000000040B0: D3B70050 1D42196C
	s_add_u32 m0, 0x1100, m0                                   // 0000000040B8: 807C7CFF 00001100
	v_mfma_f32_32x32x16_bf16 v[80:95], a[112:115], a[16:19], v[80:95]// 0000000040C0: D3B70050 1D422170
	buffer_load_dwordx4 v21, s[16:19], s57 offen lds           // 0000000040C8: E05D1000 39040015
	v_mfma_f32_32x32x16_bf16 v[80:95], a[116:119], a[20:23], v[80:95]// 0000000040D0: D3B70050 1D422974
	s_add_u32 m0, 0x1100, m0                                   // 0000000040D8: 807C7CFF 00001100
	v_mfma_f32_32x32x16_bf16 v[80:95], a[120:123], a[24:27], v[80:95]// 0000000040E0: D3B70050 1D423178
	buffer_load_dwordx4 v22, s[16:19], s57 offen lds           // 0000000040E8: E05D1000 39040016
	v_mfma_f32_32x32x16_bf16 v[80:95], a[124:127], a[28:31], v[80:95]// 0000000040F0: D3B70050 1D42397C
	s_add_u32 m0, 0x1100, m0                                   // 0000000040F8: 807C7CFF 00001100
	v_mfma_f32_32x32x16_bf16 v[80:95], a[128:131], a[32:35], v[80:95]// 000000004100: D3B70050 1D424180
	v_mfma_f32_32x32x16_bf16 v[80:95], a[132:135], a[36:39], v[80:95]// 000000004108: D3B70050 1D424984
	v_mfma_f32_32x32x16_bf16 v[80:95], a[136:139], a[40:43], v[80:95]// 000000004110: D3B70050 1D425188
	v_mfma_f32_32x32x16_bf16 v[80:95], a[140:143], a[44:47], v[80:95]// 000000004118: D3B70050 1D42598C
	s_add_i32 s56, s58, s56                                    // 000000004120: 8138383A
	s_mov_b32 m0, s36                                          // 000000004124: BEFC0024
	buffer_load_dwordx4 v23, s[16:19], s57 offen lds           // 000000004128: E05D1000 39040017
	s_add_u32 m0, 0x1100, m0                                   // 000000004130: 807C7CFF 00001100
	buffer_load_dwordx4 v24, s[16:19], s57 offen lds           // 000000004138: E05D1000 39040018
	s_add_u32 m0, 0x1100, m0                                   // 000000004140: 807C7CFF 00001100
	;; [unrolled: 2-line block ×3, first 2 shown]
	buffer_load_dwordx4 v26, s[16:19], s57 offen lds           // 000000004158: E05D1000 3904001A
	s_add_u32 m0, 0x1100, m0                                   // 000000004160: 807C7CFF 00001100
	s_add_i32 s57, s59, s57                                    // 000000004168: 8139393B
	s_cmp_lt_i32 s62, s65                                      // 00000000416C: BF04413E
	s_cbranch_scc1 label_04A2                                  // 000000004170: BF850105
	s_sub_i32 s72, s38, s62                                    // 000000004174: 81C83E26
	v_sub_i32 v226, s72, v241                                  // 000000004178: D29D00E2 0003E248
	v_cmp_lt_i32_e64 s[68:69], 0, v226                         // 000000004180: D0C10044 0003C480
	v_cmp_lt_i32_e64 s[70:71], 1, v226                         // 000000004188: D0C10046 0003C481
	v_cndmask_b32_e64 v32, v225, v32, s[68:69]                 // 000000004190: D1000020 011241E1
	v_cndmask_b32_e64 v33, v225, v33, s[70:71]                 // 000000004198: D1000021 011A43E1
	v_cmp_lt_i32_e64 s[68:69], 2, v226                         // 0000000041A0: D0C10044 0003C482
	v_cmp_lt_i32_e64 s[70:71], 3, v226                         // 0000000041A8: D0C10046 0003C483
	v_cndmask_b32_e64 v34, v225, v34, s[68:69]                 // 0000000041B0: D1000022 011245E1
	v_cndmask_b32_e64 v35, v225, v35, s[70:71]                 // 0000000041B8: D1000023 011A47E1
	v_cmp_lt_i32_e64 s[68:69], 8, v226                         // 0000000041C0: D0C10044 0003C488
	v_cmp_lt_i32_e64 s[70:71], 9, v226                         // 0000000041C8: D0C10046 0003C489
	v_cndmask_b32_e64 v36, v225, v36, s[68:69]                 // 0000000041D0: D1000024 011249E1
	v_cndmask_b32_e64 v37, v225, v37, s[70:71]                 // 0000000041D8: D1000025 011A4BE1
	v_cmp_lt_i32_e64 s[68:69], 10, v226                        // 0000000041E0: D0C10044 0003C48A
	v_cmp_lt_i32_e64 s[70:71], 11, v226                        // 0000000041E8: D0C10046 0003C48B
	v_cndmask_b32_e64 v38, v225, v38, s[68:69]                 // 0000000041F0: D1000026 01124DE1
	v_cndmask_b32_e64 v39, v225, v39, s[70:71]                 // 0000000041F8: D1000027 011A4FE1
	v_cmp_lt_i32_e64 s[68:69], 16, v226                        // 000000004200: D0C10044 0003C490
	v_cmp_lt_i32_e64 s[70:71], 17, v226                        // 000000004208: D0C10046 0003C491
	v_cndmask_b32_e64 v40, v225, v40, s[68:69]                 // 000000004210: D1000028 011251E1
	v_cndmask_b32_e64 v41, v225, v41, s[70:71]                 // 000000004218: D1000029 011A53E1
	v_cmp_lt_i32_e64 s[68:69], 18, v226                        // 000000004220: D0C10044 0003C492
	v_cmp_lt_i32_e64 s[70:71], 19, v226                        // 000000004228: D0C10046 0003C493
	v_cndmask_b32_e64 v42, v225, v42, s[68:69]                 // 000000004230: D100002A 011255E1
	v_cndmask_b32_e64 v43, v225, v43, s[70:71]                 // 000000004238: D100002B 011A57E1
	v_cmp_lt_i32_e64 s[68:69], 24, v226                        // 000000004240: D0C10044 0003C498
	v_cmp_lt_i32_e64 s[70:71], 25, v226                        // 000000004248: D0C10046 0003C499
	v_cndmask_b32_e64 v44, v225, v44, s[68:69]                 // 000000004250: D100002C 011259E1
	v_cndmask_b32_e64 v45, v225, v45, s[70:71]                 // 000000004258: D100002D 011A5BE1
	v_cmp_lt_i32_e64 s[68:69], 26, v226                        // 000000004260: D0C10044 0003C49A
	v_cmp_lt_i32_e64 s[70:71], 27, v226                        // 000000004268: D0C10046 0003C49B
	v_cndmask_b32_e64 v46, v225, v46, s[68:69]                 // 000000004270: D100002E 01125DE1
	v_cndmask_b32_e64 v47, v225, v47, s[70:71]                 // 000000004278: D100002F 011A5FE1
	v_cmp_lt_i32_e64 s[68:69], 32, v226                        // 000000004280: D0C10044 0003C4A0
	v_cmp_lt_i32_e64 s[70:71], 33, v226                        // 000000004288: D0C10046 0003C4A1
	v_cndmask_b32_e64 v48, v225, v48, s[68:69]                 // 000000004290: D1000030 011261E1
	v_cndmask_b32_e64 v49, v225, v49, s[70:71]                 // 000000004298: D1000031 011A63E1
	v_cmp_lt_i32_e64 s[68:69], 34, v226                        // 0000000042A0: D0C10044 0003C4A2
	v_cmp_lt_i32_e64 s[70:71], 35, v226                        // 0000000042A8: D0C10046 0003C4A3
	v_cndmask_b32_e64 v50, v225, v50, s[68:69]                 // 0000000042B0: D1000032 011265E1
	v_cndmask_b32_e64 v51, v225, v51, s[70:71]                 // 0000000042B8: D1000033 011A67E1
	v_cmp_lt_i32_e64 s[68:69], 40, v226                        // 0000000042C0: D0C10044 0003C4A8
	v_cmp_lt_i32_e64 s[70:71], 41, v226                        // 0000000042C8: D0C10046 0003C4A9
	v_cndmask_b32_e64 v52, v225, v52, s[68:69]                 // 0000000042D0: D1000034 011269E1
	v_cndmask_b32_e64 v53, v225, v53, s[70:71]                 // 0000000042D8: D1000035 011A6BE1
	v_cmp_lt_i32_e64 s[68:69], 42, v226                        // 0000000042E0: D0C10044 0003C4AA
	v_cmp_lt_i32_e64 s[70:71], 43, v226                        // 0000000042E8: D0C10046 0003C4AB
	v_cndmask_b32_e64 v54, v225, v54, s[68:69]                 // 0000000042F0: D1000036 01126DE1
	v_cndmask_b32_e64 v55, v225, v55, s[70:71]                 // 0000000042F8: D1000037 011A6FE1
	v_cmp_lt_i32_e64 s[68:69], 48, v226                        // 000000004300: D0C10044 0003C4B0
	v_cmp_lt_i32_e64 s[70:71], 49, v226                        // 000000004308: D0C10046 0003C4B1
	v_cndmask_b32_e64 v56, v225, v56, s[68:69]                 // 000000004310: D1000038 011271E1
	v_cndmask_b32_e64 v57, v225, v57, s[70:71]                 // 000000004318: D1000039 011A73E1
	v_cmp_lt_i32_e64 s[68:69], 50, v226                        // 000000004320: D0C10044 0003C4B2
	v_cmp_lt_i32_e64 s[70:71], 51, v226                        // 000000004328: D0C10046 0003C4B3
	v_cndmask_b32_e64 v58, v225, v58, s[68:69]                 // 000000004330: D100003A 011275E1
	v_cndmask_b32_e64 v59, v225, v59, s[70:71]                 // 000000004338: D100003B 011A77E1
	v_cmp_lt_i32_e64 s[68:69], 56, v226                        // 000000004340: D0C10044 0003C4B8
	v_cmp_lt_i32_e64 s[70:71], 57, v226                        // 000000004348: D0C10046 0003C4B9
	v_cndmask_b32_e64 v60, v225, v60, s[68:69]                 // 000000004350: D100003C 011279E1
	v_cndmask_b32_e64 v61, v225, v61, s[70:71]                 // 000000004358: D100003D 011A7BE1
	v_cmp_lt_i32_e64 s[68:69], 58, v226                        // 000000004360: D0C10044 0003C4BA
	v_cmp_lt_i32_e64 s[70:71], 59, v226                        // 000000004368: D0C10046 0003C4BB
	v_cndmask_b32_e64 v62, v225, v62, s[68:69]                 // 000000004370: D100003E 01127DE1
	v_cndmask_b32_e64 v63, v225, v63, s[70:71]                 // 000000004378: D100003F 011A7FE1
	v_sub_i32 v226, v226, 64                                   // 000000004380: D29D00E2 000181E2
	v_cmp_lt_i32_e64 s[68:69], 0, v226                         // 000000004388: D0C10044 0003C480
	v_cmp_lt_i32_e64 s[70:71], 1, v226                         // 000000004390: D0C10046 0003C481
	v_cndmask_b32_e64 v64, v225, v64, s[68:69]                 // 000000004398: D1000040 011281E1
	v_cndmask_b32_e64 v65, v225, v65, s[70:71]                 // 0000000043A0: D1000041 011A83E1
	v_cmp_lt_i32_e64 s[68:69], 2, v226                         // 0000000043A8: D0C10044 0003C482
	v_cmp_lt_i32_e64 s[70:71], 3, v226                         // 0000000043B0: D0C10046 0003C483
	v_cndmask_b32_e64 v66, v225, v66, s[68:69]                 // 0000000043B8: D1000042 011285E1
	v_cndmask_b32_e64 v67, v225, v67, s[70:71]                 // 0000000043C0: D1000043 011A87E1
	v_cmp_lt_i32_e64 s[68:69], 8, v226                         // 0000000043C8: D0C10044 0003C488
	v_cmp_lt_i32_e64 s[70:71], 9, v226                         // 0000000043D0: D0C10046 0003C489
	v_cndmask_b32_e64 v68, v225, v68, s[68:69]                 // 0000000043D8: D1000044 011289E1
	v_cndmask_b32_e64 v69, v225, v69, s[70:71]                 // 0000000043E0: D1000045 011A8BE1
	v_cmp_lt_i32_e64 s[68:69], 10, v226                        // 0000000043E8: D0C10044 0003C48A
	v_cmp_lt_i32_e64 s[70:71], 11, v226                        // 0000000043F0: D0C10046 0003C48B
	v_cndmask_b32_e64 v70, v225, v70, s[68:69]                 // 0000000043F8: D1000046 01128DE1
	v_cndmask_b32_e64 v71, v225, v71, s[70:71]                 // 000000004400: D1000047 011A8FE1
	v_cmp_lt_i32_e64 s[68:69], 16, v226                        // 000000004408: D0C10044 0003C490
	v_cmp_lt_i32_e64 s[70:71], 17, v226                        // 000000004410: D0C10046 0003C491
	v_cndmask_b32_e64 v72, v225, v72, s[68:69]                 // 000000004418: D1000048 011291E1
	v_cndmask_b32_e64 v73, v225, v73, s[70:71]                 // 000000004420: D1000049 011A93E1
	v_cmp_lt_i32_e64 s[68:69], 18, v226                        // 000000004428: D0C10044 0003C492
	v_cmp_lt_i32_e64 s[70:71], 19, v226                        // 000000004430: D0C10046 0003C493
	v_cndmask_b32_e64 v74, v225, v74, s[68:69]                 // 000000004438: D100004A 011295E1
	v_cndmask_b32_e64 v75, v225, v75, s[70:71]                 // 000000004440: D100004B 011A97E1
	v_cmp_lt_i32_e64 s[68:69], 24, v226                        // 000000004448: D0C10044 0003C498
	v_cmp_lt_i32_e64 s[70:71], 25, v226                        // 000000004450: D0C10046 0003C499
	v_cndmask_b32_e64 v76, v225, v76, s[68:69]                 // 000000004458: D100004C 011299E1
	v_cndmask_b32_e64 v77, v225, v77, s[70:71]                 // 000000004460: D100004D 011A9BE1
	v_cmp_lt_i32_e64 s[68:69], 26, v226                        // 000000004468: D0C10044 0003C49A
	v_cmp_lt_i32_e64 s[70:71], 27, v226                        // 000000004470: D0C10046 0003C49B
	v_cndmask_b32_e64 v78, v225, v78, s[68:69]                 // 000000004478: D100004E 01129DE1
	v_cndmask_b32_e64 v79, v225, v79, s[70:71]                 // 000000004480: D100004F 011A9FE1
	v_cmp_lt_i32_e64 s[68:69], 32, v226                        // 000000004488: D0C10044 0003C4A0
	v_cmp_lt_i32_e64 s[70:71], 33, v226                        // 000000004490: D0C10046 0003C4A1
	v_cndmask_b32_e64 v80, v225, v80, s[68:69]                 // 000000004498: D1000050 0112A1E1
	v_cndmask_b32_e64 v81, v225, v81, s[70:71]                 // 0000000044A0: D1000051 011AA3E1
	v_cmp_lt_i32_e64 s[68:69], 34, v226                        // 0000000044A8: D0C10044 0003C4A2
	v_cmp_lt_i32_e64 s[70:71], 35, v226                        // 0000000044B0: D0C10046 0003C4A3
	v_cndmask_b32_e64 v82, v225, v82, s[68:69]                 // 0000000044B8: D1000052 0112A5E1
	v_cndmask_b32_e64 v83, v225, v83, s[70:71]                 // 0000000044C0: D1000053 011AA7E1
	v_cmp_lt_i32_e64 s[68:69], 40, v226                        // 0000000044C8: D0C10044 0003C4A8
	v_cmp_lt_i32_e64 s[70:71], 41, v226                        // 0000000044D0: D0C10046 0003C4A9
	v_cndmask_b32_e64 v84, v225, v84, s[68:69]                 // 0000000044D8: D1000054 0112A9E1
	v_cndmask_b32_e64 v85, v225, v85, s[70:71]                 // 0000000044E0: D1000055 011AABE1
	v_cmp_lt_i32_e64 s[68:69], 42, v226                        // 0000000044E8: D0C10044 0003C4AA
	v_cmp_lt_i32_e64 s[70:71], 43, v226                        // 0000000044F0: D0C10046 0003C4AB
	v_cndmask_b32_e64 v86, v225, v86, s[68:69]                 // 0000000044F8: D1000056 0112ADE1
	v_cndmask_b32_e64 v87, v225, v87, s[70:71]                 // 000000004500: D1000057 011AAFE1
	v_cmp_lt_i32_e64 s[68:69], 48, v226                        // 000000004508: D0C10044 0003C4B0
	v_cmp_lt_i32_e64 s[70:71], 49, v226                        // 000000004510: D0C10046 0003C4B1
	v_cndmask_b32_e64 v88, v225, v88, s[68:69]                 // 000000004518: D1000058 0112B1E1
	v_cndmask_b32_e64 v89, v225, v89, s[70:71]                 // 000000004520: D1000059 011AB3E1
	v_cmp_lt_i32_e64 s[68:69], 50, v226                        // 000000004528: D0C10044 0003C4B2
	v_cmp_lt_i32_e64 s[70:71], 51, v226                        // 000000004530: D0C10046 0003C4B3
	v_cndmask_b32_e64 v90, v225, v90, s[68:69]                 // 000000004538: D100005A 0112B5E1
	v_cndmask_b32_e64 v91, v225, v91, s[70:71]                 // 000000004540: D100005B 011AB7E1
	v_cmp_lt_i32_e64 s[68:69], 56, v226                        // 000000004548: D0C10044 0003C4B8
	v_cmp_lt_i32_e64 s[70:71], 57, v226                        // 000000004550: D0C10046 0003C4B9
	v_cndmask_b32_e64 v92, v225, v92, s[68:69]                 // 000000004558: D100005C 0112B9E1
	v_cndmask_b32_e64 v93, v225, v93, s[70:71]                 // 000000004560: D100005D 011ABBE1
	v_cmp_lt_i32_e64 s[68:69], 58, v226                        // 000000004568: D0C10044 0003C4BA
	v_cmp_lt_i32_e64 s[70:71], 59, v226                        // 000000004570: D0C10046 0003C4BB
	v_cndmask_b32_e64 v94, v225, v94, s[68:69]                 // 000000004578: D100005E 0112BDE1
	v_cndmask_b32_e64 v95, v225, v95, s[70:71]                 // 000000004580: D100005F 011ABFE1

0000000000004588 <label_04A2>:
	s_nop 0                                                    // 000000004588: BF800000
	v_mov_b32_e32 v237, v233                                   // 00000000458C: 7FDA03E9
	v_max3_f32 v237, v32, v33, v237                            // 000000004590: D1D300ED 07B64320
	v_max3_f32 v237, v34, v35, v237                            // 000000004598: D1D300ED 07B64722
	v_max3_f32 v237, v36, v37, v237                            // 0000000045A0: D1D300ED 07B64B24
	v_max3_f32 v237, v38, v39, v237                            // 0000000045A8: D1D300ED 07B64F26
	v_max3_f32 v237, v40, v41, v237                            // 0000000045B0: D1D300ED 07B65328
	v_max3_f32 v237, v42, v43, v237                            // 0000000045B8: D1D300ED 07B6572A
	v_max3_f32 v237, v44, v45, v237                            // 0000000045C0: D1D300ED 07B65B2C
	v_max3_f32 v237, v46, v47, v237                            // 0000000045C8: D1D300ED 07B65F2E
	v_max3_f32 v237, v48, v49, v237                            // 0000000045D0: D1D300ED 07B66330
	v_max3_f32 v237, v50, v51, v237                            // 0000000045D8: D1D300ED 07B66732
	v_max3_f32 v237, v52, v53, v237                            // 0000000045E0: D1D300ED 07B66B34
	v_max3_f32 v237, v54, v55, v237                            // 0000000045E8: D1D300ED 07B66F36
	v_max3_f32 v237, v56, v57, v237                            // 0000000045F0: D1D300ED 07B67338
	v_max3_f32 v237, v58, v59, v237                            // 0000000045F8: D1D300ED 07B6773A
	v_max3_f32 v237, v60, v61, v237                            // 000000004600: D1D300ED 07B67B3C
	v_max3_f32 v237, v62, v63, v237                            // 000000004608: D1D300ED 07B67F3E
	v_max3_f32 v237, v64, v65, v237                            // 000000004610: D1D300ED 07B68340
	v_max3_f32 v237, v66, v67, v237                            // 000000004618: D1D300ED 07B68742
	v_max3_f32 v237, v68, v69, v237                            // 000000004620: D1D300ED 07B68B44
	v_max3_f32 v237, v70, v71, v237                            // 000000004628: D1D300ED 07B68F46
	v_max3_f32 v237, v72, v73, v237                            // 000000004630: D1D300ED 07B69348
	v_max3_f32 v237, v74, v75, v237                            // 000000004638: D1D300ED 07B6974A
	v_max3_f32 v237, v76, v77, v237                            // 000000004640: D1D300ED 07B69B4C
	v_max3_f32 v237, v78, v79, v237                            // 000000004648: D1D300ED 07B69F4E
	v_max3_f32 v237, v80, v81, v237                            // 000000004650: D1D300ED 07B6A350
	v_max3_f32 v237, v82, v83, v237                            // 000000004658: D1D300ED 07B6A752
	v_max3_f32 v237, v84, v85, v237                            // 000000004660: D1D300ED 07B6AB54
	v_max3_f32 v237, v86, v87, v237                            // 000000004668: D1D300ED 07B6AF56
	v_max3_f32 v237, v88, v89, v237                            // 000000004670: D1D300ED 07B6B358
	v_max3_f32 v237, v90, v91, v237                            // 000000004678: D1D300ED 07B6B75A
	v_max3_f32 v237, v92, v93, v237                            // 000000004680: D1D300ED 07B6BB5C
	v_max3_f32 v237, v94, v95, v237                            // 000000004688: D1D300ED 07B6BF5E
	v_mov_b32_e32 v238, v237                                   // 000000004690: 7FDC03ED
	v_nop                                                      // 000000004694: 7E000000
	v_nop                                                      // 000000004698: 7E000000
	v_permlane32_swap_b32_e32 v238, v237                       // 00000000469C: 7FDCB5ED
	v_max_f32_e32 v237, v238, v237                             // 0000000046A0: 17DBDBEE
	v_mov_b32_e32 v230, 0                                      // 0000000046A4: 7FCC0280
	v_mov_b32_e32 v233, v237                                   // 0000000046A8: 7FD203ED
	v_mul_f32_e32 v236, s32, v237                              // 0000000046AC: 0BD9DA20
	v_mul_f32_e32 v230, s32, v230                              // 0000000046B0: 0BCDCC20
	v_exp_f32_e32 v230, v230                                   // 0000000046B4: 7FCC41E6
	v_fma_f32 v32, v32, s32, -v236                             // 0000000046B8: D1CB0020 87B04120
	v_fma_f32 v33, v33, s32, -v236                             // 0000000046C0: D1CB0021 87B04121
	v_fma_f32 v34, v34, s32, -v236                             // 0000000046C8: D1CB0022 87B04122
	v_fma_f32 v35, v35, s32, -v236                             // 0000000046D0: D1CB0023 87B04123
	v_fma_f32 v36, v36, s32, -v236                             // 0000000046D8: D1CB0024 87B04124
	v_fma_f32 v37, v37, s32, -v236                             // 0000000046E0: D1CB0025 87B04125
	v_fma_f32 v38, v38, s32, -v236                             // 0000000046E8: D1CB0026 87B04126
	v_fma_f32 v39, v39, s32, -v236                             // 0000000046F0: D1CB0027 87B04127
	v_fma_f32 v40, v40, s32, -v236                             // 0000000046F8: D1CB0028 87B04128
	v_fma_f32 v41, v41, s32, -v236                             // 000000004700: D1CB0029 87B04129
	v_fma_f32 v42, v42, s32, -v236                             // 000000004708: D1CB002A 87B0412A
	v_fma_f32 v43, v43, s32, -v236                             // 000000004710: D1CB002B 87B0412B
	v_fma_f32 v44, v44, s32, -v236                             // 000000004718: D1CB002C 87B0412C
	v_fma_f32 v45, v45, s32, -v236                             // 000000004720: D1CB002D 87B0412D
	v_fma_f32 v46, v46, s32, -v236                             // 000000004728: D1CB002E 87B0412E
	v_fma_f32 v47, v47, s32, -v236                             // 000000004730: D1CB002F 87B0412F
	v_fma_f32 v48, v48, s32, -v236                             // 000000004738: D1CB0030 87B04130
	v_fma_f32 v49, v49, s32, -v236                             // 000000004740: D1CB0031 87B04131
	v_fma_f32 v50, v50, s32, -v236                             // 000000004748: D1CB0032 87B04132
	v_fma_f32 v51, v51, s32, -v236                             // 000000004750: D1CB0033 87B04133
	v_fma_f32 v52, v52, s32, -v236                             // 000000004758: D1CB0034 87B04134
	v_fma_f32 v53, v53, s32, -v236                             // 000000004760: D1CB0035 87B04135
	v_fma_f32 v54, v54, s32, -v236                             // 000000004768: D1CB0036 87B04136
	v_fma_f32 v55, v55, s32, -v236                             // 000000004770: D1CB0037 87B04137
	v_fma_f32 v56, v56, s32, -v236                             // 000000004778: D1CB0038 87B04138
	v_fma_f32 v57, v57, s32, -v236                             // 000000004780: D1CB0039 87B04139
	v_fma_f32 v58, v58, s32, -v236                             // 000000004788: D1CB003A 87B0413A
	v_fma_f32 v59, v59, s32, -v236                             // 000000004790: D1CB003B 87B0413B
	v_fma_f32 v60, v60, s32, -v236                             // 000000004798: D1CB003C 87B0413C
	v_fma_f32 v61, v61, s32, -v236                             // 0000000047A0: D1CB003D 87B0413D
	v_fma_f32 v62, v62, s32, -v236                             // 0000000047A8: D1CB003E 87B0413E
	v_fma_f32 v63, v63, s32, -v236                             // 0000000047B0: D1CB003F 87B0413F
	v_fma_f32 v64, v64, s32, -v236                             // 0000000047B8: D1CB0040 87B04140
	v_fma_f32 v65, v65, s32, -v236                             // 0000000047C0: D1CB0041 87B04141
	v_fma_f32 v66, v66, s32, -v236                             // 0000000047C8: D1CB0042 87B04142
	v_fma_f32 v67, v67, s32, -v236                             // 0000000047D0: D1CB0043 87B04143
	v_fma_f32 v68, v68, s32, -v236                             // 0000000047D8: D1CB0044 87B04144
	v_fma_f32 v69, v69, s32, -v236                             // 0000000047E0: D1CB0045 87B04145
	v_fma_f32 v70, v70, s32, -v236                             // 0000000047E8: D1CB0046 87B04146
	v_fma_f32 v71, v71, s32, -v236                             // 0000000047F0: D1CB0047 87B04147
	v_fma_f32 v72, v72, s32, -v236                             // 0000000047F8: D1CB0048 87B04148
	v_fma_f32 v73, v73, s32, -v236                             // 000000004800: D1CB0049 87B04149
	v_fma_f32 v74, v74, s32, -v236                             // 000000004808: D1CB004A 87B0414A
	v_fma_f32 v75, v75, s32, -v236                             // 000000004810: D1CB004B 87B0414B
	v_fma_f32 v76, v76, s32, -v236                             // 000000004818: D1CB004C 87B0414C
	v_fma_f32 v77, v77, s32, -v236                             // 000000004820: D1CB004D 87B0414D
	v_fma_f32 v78, v78, s32, -v236                             // 000000004828: D1CB004E 87B0414E
	v_fma_f32 v79, v79, s32, -v236                             // 000000004830: D1CB004F 87B0414F
	v_fma_f32 v80, v80, s32, -v236                             // 000000004838: D1CB0050 87B04150
	v_fma_f32 v81, v81, s32, -v236                             // 000000004840: D1CB0051 87B04151
	v_fma_f32 v82, v82, s32, -v236                             // 000000004848: D1CB0052 87B04152
	v_fma_f32 v83, v83, s32, -v236                             // 000000004850: D1CB0053 87B04153
	v_fma_f32 v84, v84, s32, -v236                             // 000000004858: D1CB0054 87B04154
	v_fma_f32 v85, v85, s32, -v236                             // 000000004860: D1CB0055 87B04155
	v_fma_f32 v86, v86, s32, -v236                             // 000000004868: D1CB0056 87B04156
	v_fma_f32 v87, v87, s32, -v236                             // 000000004870: D1CB0057 87B04157
	v_fma_f32 v88, v88, s32, -v236                             // 000000004878: D1CB0058 87B04158
	v_fma_f32 v89, v89, s32, -v236                             // 000000004880: D1CB0059 87B04159
	v_fma_f32 v90, v90, s32, -v236                             // 000000004888: D1CB005A 87B0415A
	v_fma_f32 v91, v91, s32, -v236                             // 000000004890: D1CB005B 87B0415B
	v_fma_f32 v92, v92, s32, -v236                             // 000000004898: D1CB005C 87B0415C
	v_fma_f32 v93, v93, s32, -v236                             // 0000000048A0: D1CB005D 87B0415D
	v_fma_f32 v94, v94, s32, -v236                             // 0000000048A8: D1CB005E 87B0415E
	v_fma_f32 v95, v95, s32, -v236                             // 0000000048B0: D1CB005F 87B0415F
	v_exp_f32_e32 v32, v32                                     // 0000000048B8: 7E404120
	s_waitcnt vmcnt(14)                                        // 0000000048BC: BF8C0F7E
	s_barrier                                                  // 0000000048C0: BF8A0000
	s_nop 0                                                    // 0000000048C4: BF800000
	ds_read_b128 a[48:51], v27                                 // 0000000048C8: DBFE0000 3000001B
	ds_read_b128 a[52:55], v27 offset:32                       // 0000000048D0: DBFE0020 3400001B
	ds_read_b128 a[56:59], v27 offset:64                       // 0000000048D8: DBFE0040 3800001B
	ds_read_b128 a[60:63], v27 offset:96                       // 0000000048E0: DBFE0060 3C00001B
	ds_read_b128 a[64:67], v28                                 // 0000000048E8: DBFE0000 4000001C
	ds_read_b128 a[68:71], v28 offset:32                       // 0000000048F0: DBFE0020 4400001C
	ds_read_b128 a[72:75], v28 offset:64                       // 0000000048F8: DBFE0040 4800001C
	ds_read_b128 a[76:79], v28 offset:96                       // 000000004900: DBFE0060 4C00001C
	ds_read_b128 a[80:83], v29                                 // 000000004908: DBFE0000 5000001D
	ds_read_b128 a[84:87], v29 offset:32                       // 000000004910: DBFE0020 5400001D
	ds_read_b128 a[88:91], v29 offset:64                       // 000000004918: DBFE0040 5800001D
	ds_read_b128 a[92:95], v29 offset:96                       // 000000004920: DBFE0060 5C00001D
	ds_read_b128 a[96:99], v27 offset:512                      // 000000004928: DBFE0200 6000001B
	ds_read_b128 a[100:103], v27 offset:544                    // 000000004930: DBFE0220 6400001B
	ds_read_b128 a[104:107], v27 offset:576                    // 000000004938: DBFE0240 6800001B
	ds_read_b128 a[108:111], v27 offset:608                    // 000000004940: DBFE0260 6C00001B
	ds_read_b128 a[112:115], v28 offset:512                    // 000000004948: DBFE0200 7000001C
	ds_read_b128 a[116:119], v28 offset:544                    // 000000004950: DBFE0220 7400001C
	ds_read_b128 a[120:123], v28 offset:576                    // 000000004958: DBFE0240 7800001C
	ds_read_b128 a[124:127], v28 offset:608                    // 000000004960: DBFE0260 7C00001C
	ds_read_b128 a[128:131], v29 offset:512                    // 000000004968: DBFE0200 8000001D
	ds_read_b128 a[132:135], v29 offset:544                    // 000000004970: DBFE0220 8400001D
	ds_read_b128 a[136:139], v29 offset:576                    // 000000004978: DBFE0240 8800001D
	ds_read_b128 a[140:143], v29 offset:608                    // 000000004980: DBFE0260 8C00001D
	s_nop 0                                                    // 000000004988: BF800000
	s_nop 0                                                    // 00000000498C: BF800000
	s_addk_i32 s61, 0x80                                       // 000000004990: B73D0080
	s_add_i32 s62, s62, s63                                    // 000000004994: 813E3F3E
	s_cmp_lt_i32 s61, s60                                      // 000000004998: BF043C3D
	s_cbranch_scc0 label_18B2                                  // 00000000499C: BF84130A
	s_cmp_lt_i32 s5, 2                                         // 0000000049A0: BF048205
	s_cbranch_scc0 label_0F2E                                  // 0000000049A4: BF840984

00000000000049a8 <label_05AA>:
	s_waitcnt vmcnt(8) lgkmcnt(0)                              // 0000000049A8: BF8C0078
	s_barrier                                                  // 0000000049AC: BF8A0000
	s_mov_b32 m0, s33                                          // 0000000049B0: BEFC0021
	v_mfma_f32_32x32x16_bf16 v[96:111], a[48:51], a[0:3], 0    // 0000000049B4: D3B70060 1A020130
	buffer_load_dwordx4 v7, s[12:15], s56 offen lds            // 0000000049BC: E05D1000 38030007
	v_exp_f32_e32 v33, v33                                     // 0000000049C4: 7E424121
	v_exp_f32_e32 v34, v34                                     // 0000000049C8: 7E444122
	v_mfma_f32_32x32x16_bf16 v[96:111], a[52:55], a[4:7], v[96:111]// 0000000049CC: D3B70060 1D820934
	ds_read_b128 a[144:147], v27 offset:24960                  // 0000000049D4: DBFE6180 9000001B
	ds_read_b128 a[148:151], v27 offset:24992                  // 0000000049DC: DBFE61A0 9400001B
	ds_read_b128 a[152:155], v27 offset:25024                  // 0000000049E4: DBFE61C0 9800001B
	ds_read_b128 a[156:159], v27 offset:25056                  // 0000000049EC: DBFE61E0 9C00001B
	v_exp_f32_e32 v35, v35                                     // 0000000049F4: 7E464123
	v_mfma_f32_32x32x16_bf16 v[96:111], a[56:59], a[8:11], v[96:111]// 0000000049F8: D3B70060 1D821138
	s_add_u32 m0, 0x1040, m0                                   // 000000004A00: 807C7CFF 00001040
	buffer_load_dwordx4 v8, s[12:15], s56 offen lds            // 000000004A08: E05D1000 38030008
	s_add_u32 m0, 0x1040, m0                                   // 000000004A10: 807C7CFF 00001040
	v_exp_f32_e32 v36, v36                                     // 000000004A18: 7E484124
	v_mfma_f32_32x32x16_bf16 v[96:111], a[60:63], a[12:15], v[96:111]// 000000004A1C: D3B70060 1D82193C
	ds_read_b128 a[160:163], v28 offset:24960                  // 000000004A24: DBFE6180 A000001C
	ds_read_b128 a[164:167], v28 offset:24992                  // 000000004A2C: DBFE61A0 A400001C
	ds_read_b128 a[168:171], v28 offset:25024                  // 000000004A34: DBFE61C0 A800001C
	ds_read_b128 a[172:175], v28 offset:25056                  // 000000004A3C: DBFE61E0 AC00001C
	v_exp_f32_e32 v37, v37                                     // 000000004A44: 7E4A4125
	v_mfma_f32_32x32x16_bf16 v[96:111], a[64:67], a[16:19], v[96:111]// 000000004A48: D3B70060 1D822140
	buffer_load_dwordx4 v9, s[12:15], s56 offen lds            // 000000004A50: E05D1000 38030009
	v_exp_f32_e32 v38, v38                                     // 000000004A58: 7E4C4126
	v_exp_f32_e32 v39, v39                                     // 000000004A5C: 7E4E4127
	v_mfma_f32_32x32x16_bf16 v[96:111], a[68:71], a[20:23], v[96:111]// 000000004A60: D3B70060 1D822944
	ds_read_b128 a[176:179], v29 offset:24960                  // 000000004A68: DBFE6180 B000001D
	ds_read_b128 a[180:183], v29 offset:24992                  // 000000004A70: DBFE61A0 B400001D
	ds_read_b128 a[184:187], v29 offset:25024                  // 000000004A78: DBFE61C0 B800001D
	ds_read_b128 a[188:191], v29 offset:25056                  // 000000004A80: DBFE61E0 BC00001D
	v_exp_f32_e32 v40, v40                                     // 000000004A88: 7E504128
	v_mfma_f32_32x32x16_bf16 v[96:111], a[72:75], a[24:27], v[96:111]// 000000004A8C: D3B70060 1D823148
	s_add_u32 m0, 0x1040, m0                                   // 000000004A94: 807C7CFF 00001040
	buffer_load_dwordx4 v10, s[12:15], s56 offen lds           // 000000004A9C: E05D1000 3803000A
	s_add_u32 m0, 0x1040, m0                                   // 000000004AA4: 807C7CFF 00001040
	v_exp_f32_e32 v41, v41                                     // 000000004AAC: 7E524129
	v_mfma_f32_32x32x16_bf16 v[96:111], a[76:79], a[28:31], v[96:111]// 000000004AB0: D3B70060 1D82394C
	ds_read_b128 a[192:195], v27 offset:25472                  // 000000004AB8: DBFE6380 C000001B
	ds_read_b128 a[196:199], v27 offset:25504                  // 000000004AC0: DBFE63A0 C400001B
	ds_read_b128 a[200:203], v27 offset:25536                  // 000000004AC8: DBFE63C0 C800001B
	ds_read_b128 a[204:207], v27 offset:25568                  // 000000004AD0: DBFE63E0 CC00001B
	v_exp_f32_e32 v42, v42                                     // 000000004AD8: 7E54412A
	v_mfma_f32_32x32x16_bf16 v[96:111], a[80:83], a[32:35], v[96:111]// 000000004ADC: D3B70060 1D824150
	buffer_load_dwordx4 v11, s[12:15], s56 offen lds           // 000000004AE4: E05D1000 3803000B
	v_exp_f32_e32 v43, v43                                     // 000000004AEC: 7E56412B
	v_exp_f32_e32 v44, v44                                     // 000000004AF0: 7E58412C
	v_mfma_f32_32x32x16_bf16 v[96:111], a[84:87], a[36:39], v[96:111]// 000000004AF4: D3B70060 1D824954
	ds_read_b128 a[208:211], v28 offset:25472                  // 000000004AFC: DBFE6380 D000001C
	ds_read_b128 a[212:215], v28 offset:25504                  // 000000004B04: DBFE63A0 D400001C
	ds_read_b128 a[216:219], v28 offset:25536                  // 000000004B0C: DBFE63C0 D800001C
	ds_read_b128 a[220:223], v28 offset:25568                  // 000000004B14: DBFE63E0 DC00001C
	v_exp_f32_e32 v45, v45                                     // 000000004B1C: 7E5A412D
	v_mfma_f32_32x32x16_bf16 v[96:111], a[88:91], a[40:43], v[96:111]// 000000004B20: D3B70060 1D825158
	s_add_u32 m0, 0x1040, m0                                   // 000000004B28: 807C7CFF 00001040
	buffer_load_dwordx4 v12, s[12:15], s56 offen lds           // 000000004B30: E05D1000 3803000C
	s_add_u32 m0, 0x1040, m0                                   // 000000004B38: 807C7CFF 00001040
	v_exp_f32_e32 v46, v46                                     // 000000004B40: 7E5C412E
	v_mfma_f32_32x32x16_bf16 v[96:111], a[92:95], a[44:47], v[96:111]// 000000004B44: D3B70060 1D82595C
	ds_read_b128 a[224:227], v29 offset:25472                  // 000000004B4C: DBFE6380 E000001D
	ds_read_b128 a[228:231], v29 offset:25504                  // 000000004B54: DBFE63A0 E400001D
	ds_read_b128 a[232:235], v29 offset:25536                  // 000000004B5C: DBFE63C0 E800001D
	ds_read_b128 a[236:239], v29 offset:25568                  // 000000004B64: DBFE63E0 EC00001D
	v_exp_f32_e32 v47, v47                                     // 000000004B6C: 7E5E412F
	v_mfma_f32_32x32x16_bf16 v[112:127], a[96:99], a[0:3], 0   // 000000004B70: D3B70070 1A020160
	v_exp_f32_e32 v48, v48                                     // 000000004B78: 7E604130
	v_exp_f32_e32 v49, v49                                     // 000000004B7C: 7E624131
	v_exp_f32_e32 v50, v50                                     // 000000004B80: 7E644132
	v_mfma_f32_32x32x16_bf16 v[112:127], a[100:103], a[4:7], v[112:127]// 000000004B84: D3B70070 1DC20964
	v_exp_f32_e32 v51, v51                                     // 000000004B8C: 7E664133
	v_exp_f32_e32 v52, v52                                     // 000000004B90: 7E684134
	v_exp_f32_e32 v53, v53                                     // 000000004B94: 7E6A4135
	v_mfma_f32_32x32x16_bf16 v[112:127], a[104:107], a[8:11], v[112:127]// 000000004B98: D3B70070 1DC21168
	v_exp_f32_e32 v54, v54                                     // 000000004BA0: 7E6C4136
	v_exp_f32_e32 v55, v55                                     // 000000004BA4: 7E6E4137
	v_exp_f32_e32 v56, v56                                     // 000000004BA8: 7E704138
	v_mfma_f32_32x32x16_bf16 v[112:127], a[108:111], a[12:15], v[112:127]// 000000004BAC: D3B70070 1DC2196C
	v_exp_f32_e32 v57, v57                                     // 000000004BB4: 7E724139
	v_exp_f32_e32 v58, v58                                     // 000000004BB8: 7E74413A
	v_exp_f32_e32 v59, v59                                     // 000000004BBC: 7E76413B
	v_mfma_f32_32x32x16_bf16 v[112:127], a[112:115], a[16:19], v[112:127]// 000000004BC0: D3B70070 1DC22170
	v_exp_f32_e32 v60, v60                                     // 000000004BC8: 7E78413C
	v_exp_f32_e32 v61, v61                                     // 000000004BCC: 7E7A413D
	v_exp_f32_e32 v62, v62                                     // 000000004BD0: 7E7C413E
	v_mfma_f32_32x32x16_bf16 v[112:127], a[116:119], a[20:23], v[112:127]// 000000004BD4: D3B70070 1DC22974
	v_exp_f32_e32 v63, v63                                     // 000000004BDC: 7E7E413F
	v_exp_f32_e32 v64, v64                                     // 000000004BE0: 7E804140
	v_exp_f32_e32 v65, v65                                     // 000000004BE4: 7E824141
	v_mfma_f32_32x32x16_bf16 v[112:127], a[120:123], a[24:27], v[112:127]// 000000004BE8: D3B70070 1DC23178
	v_exp_f32_e32 v66, v66                                     // 000000004BF0: 7E844142
	v_exp_f32_e32 v67, v67                                     // 000000004BF4: 7E864143
	v_exp_f32_e32 v68, v68                                     // 000000004BF8: 7E884144
	v_mfma_f32_32x32x16_bf16 v[112:127], a[124:127], a[28:31], v[112:127]// 000000004BFC: D3B70070 1DC2397C
	v_exp_f32_e32 v69, v69                                     // 000000004C04: 7E8A4145
	v_exp_f32_e32 v70, v70                                     // 000000004C08: 7E8C4146
	v_exp_f32_e32 v71, v71                                     // 000000004C0C: 7E8E4147
	v_mfma_f32_32x32x16_bf16 v[112:127], a[128:131], a[32:35], v[112:127]// 000000004C10: D3B70070 1DC24180
	v_exp_f32_e32 v72, v72                                     // 000000004C18: 7E904148
	v_exp_f32_e32 v73, v73                                     // 000000004C1C: 7E924149
	v_exp_f32_e32 v74, v74                                     // 000000004C20: 7E94414A
	v_mfma_f32_32x32x16_bf16 v[112:127], a[132:135], a[36:39], v[112:127]// 000000004C24: D3B70070 1DC24984
	v_exp_f32_e32 v75, v75                                     // 000000004C2C: 7E96414B
	v_exp_f32_e32 v76, v76                                     // 000000004C30: 7E98414C
	v_exp_f32_e32 v77, v77                                     // 000000004C34: 7E9A414D
	v_mfma_f32_32x32x16_bf16 v[112:127], a[136:139], a[40:43], v[112:127]// 000000004C38: D3B70070 1DC25188
	v_exp_f32_e32 v78, v78                                     // 000000004C40: 7E9C414E
	v_exp_f32_e32 v79, v79                                     // 000000004C44: 7E9E414F
	v_exp_f32_e32 v80, v80                                     // 000000004C48: 7EA04150
	v_mfma_f32_32x32x16_bf16 v[112:127], a[140:143], a[44:47], v[112:127]// 000000004C4C: D3B70070 1DC2598C
	v_exp_f32_e32 v81, v81                                     // 000000004C54: 7EA24151
	v_exp_f32_e32 v82, v82                                     // 000000004C58: 7EA44152
	v_exp_f32_e32 v83, v83                                     // 000000004C5C: 7EA64153
	s_waitcnt vmcnt(10) lgkmcnt(0)                             // 000000004C60: BF8C007A
	s_barrier                                                  // 000000004C64: BF8A0000
	s_mov_b32 m0, s34                                          // 000000004C68: BEFC0022
	v_mfma_f32_32x32x16_bf16 v[128:143], a[144:147], a[0:3], 0 // 000000004C6C: D3B70080 1A020190
	buffer_load_dwordx4 v13, s[12:15], s56 offen lds           // 000000004C74: E05D1000 3803000D
	v_exp_f32_e32 v84, v84                                     // 000000004C7C: 7EA84154
	v_exp_f32_e32 v85, v85                                     // 000000004C80: 7EAA4155
	v_mfma_f32_32x32x16_bf16 v[128:143], a[148:151], a[4:7], v[128:143]// 000000004C84: D3B70080 1E020994
	ds_read_b64_tr_b16 a[48:49], v30                           // 000000004C8C: DBC60000 3000001E
	ds_read_b64_tr_b16 a[50:51], v30 offset:512                // 000000004C94: DBC60200 3200001E
	ds_read_b64_tr_b16 a[52:53], v30 offset:2176               // 000000004C9C: DBC60880 3400001E
	ds_read_b64_tr_b16 a[54:55], v30 offset:2688               // 000000004CA4: DBC60A80 3600001E
	v_exp_f32_e32 v86, v86                                     // 000000004CAC: 7EAC4156
	v_mfma_f32_32x32x16_bf16 v[128:143], a[152:155], a[8:11], v[128:143]// 000000004CB0: D3B70080 1E021198
	s_add_u32 m0, 0x1040, m0                                   // 000000004CB8: 807C7CFF 00001040
	buffer_load_dwordx4 v14, s[12:15], s56 offen lds           // 000000004CC0: E05D1000 3803000E
	s_add_u32 m0, 0x1040, m0                                   // 000000004CC8: 807C7CFF 00001040
	v_exp_f32_e32 v87, v87                                     // 000000004CD0: 7EAE4157
	v_mfma_f32_32x32x16_bf16 v[128:143], a[156:159], a[12:15], v[128:143]// 000000004CD4: D3B70080 1E02199C
	ds_read_b64_tr_b16 a[56:57], v30 offset:4352               // 000000004CDC: DBC61100 3800001E
	ds_read_b64_tr_b16 a[58:59], v30 offset:4864               // 000000004CE4: DBC61300 3A00001E
	ds_read_b64_tr_b16 a[60:61], v30 offset:6528               // 000000004CEC: DBC61980 3C00001E
	ds_read_b64_tr_b16 a[62:63], v30 offset:7040               // 000000004CF4: DBC61B80 3E00001E
	v_exp_f32_e32 v88, v88                                     // 000000004CFC: 7EB04158
	v_mfma_f32_32x32x16_bf16 v[128:143], a[160:163], a[16:19], v[128:143]// 000000004D00: D3B70080 1E0221A0
	buffer_load_dwordx4 v15, s[12:15], s56 offen lds           // 000000004D08: E05D1000 3803000F
	v_exp_f32_e32 v89, v89                                     // 000000004D10: 7EB24159
	v_exp_f32_e32 v90, v90                                     // 000000004D14: 7EB4415A
	v_mfma_f32_32x32x16_bf16 v[128:143], a[164:167], a[20:23], v[128:143]// 000000004D18: D3B70080 1E0229A4
	ds_read_b64_tr_b16 a[64:65], v30 offset:64                 // 000000004D20: DBC60040 4000001E
	ds_read_b64_tr_b16 a[66:67], v30 offset:576                // 000000004D28: DBC60240 4200001E
	ds_read_b64_tr_b16 a[68:69], v30 offset:2240               // 000000004D30: DBC608C0 4400001E
	ds_read_b64_tr_b16 a[70:71], v30 offset:2752               // 000000004D38: DBC60AC0 4600001E
	v_exp_f32_e32 v91, v91                                     // 000000004D40: 7EB6415B
	v_mfma_f32_32x32x16_bf16 v[128:143], a[168:171], a[24:27], v[128:143]// 000000004D44: D3B70080 1E0231A8
	s_add_u32 m0, 0x1040, m0                                   // 000000004D4C: 807C7CFF 00001040
	buffer_load_dwordx4 v16, s[12:15], s56 offen lds           // 000000004D54: E05D1000 38030010
	s_add_u32 m0, 0x1040, m0                                   // 000000004D5C: 807C7CFF 00001040
	v_exp_f32_e32 v92, v92                                     // 000000004D64: 7EB8415C
	v_mfma_f32_32x32x16_bf16 v[128:143], a[172:175], a[28:31], v[128:143]// 000000004D68: D3B70080 1E0239AC
	ds_read_b64_tr_b16 a[72:73], v30 offset:4416               // 000000004D70: DBC61140 4800001E
	ds_read_b64_tr_b16 a[74:75], v30 offset:4928               // 000000004D78: DBC61340 4A00001E
	ds_read_b64_tr_b16 a[76:77], v30 offset:6592               // 000000004D80: DBC619C0 4C00001E
	ds_read_b64_tr_b16 a[78:79], v30 offset:7104               // 000000004D88: DBC61BC0 4E00001E
	v_exp_f32_e32 v93, v93                                     // 000000004D90: 7EBA415D
	v_mfma_f32_32x32x16_bf16 v[128:143], a[176:179], a[32:35], v[128:143]// 000000004D94: D3B70080 1E0241B0
	buffer_load_dwordx4 v17, s[12:15], s56 offen lds           // 000000004D9C: E05D1000 38030011
	v_exp_f32_e32 v94, v94                                     // 000000004DA4: 7EBC415E
	v_exp_f32_e32 v95, v95                                     // 000000004DA8: 7EBE415F
	v_mfma_f32_32x32x16_bf16 v[128:143], a[180:183], a[36:39], v[128:143]// 000000004DAC: D3B70080 1E0249B4
	ds_read_b64_tr_b16 a[80:81], v31                           // 000000004DB4: DBC60000 5000001F
	ds_read_b64_tr_b16 a[82:83], v31 offset:512                // 000000004DBC: DBC60200 5200001F
	ds_read_b64_tr_b16 a[84:85], v31 offset:2176               // 000000004DC4: DBC60880 5400001F
	ds_read_b64_tr_b16 a[86:87], v31 offset:2688               // 000000004DCC: DBC60A80 5600001F
	v_mul_f32_e32 v232, v230, v232                             // 000000004DD4: 0BD1D1E6
	v_add_f32_e32 v234, v33, v32                               // 000000004DD8: 03D44121
	v_mfma_f32_32x32x16_bf16 v[128:143], a[184:187], a[40:43], v[128:143]// 000000004DDC: D3B70080 1E0251B8
	s_add_u32 m0, 0x1040, m0                                   // 000000004DE4: 807C7CFF 00001040
	buffer_load_dwordx4 v18, s[12:15], s56 offen lds           // 000000004DEC: E05D1000 38030012
	s_add_u32 m0, 0x1040, m0                                   // 000000004DF4: 807C7CFF 00001040
	v_add_f32_e32 v234, v34, v234                              // 000000004DFC: 03D5D522
	v_add_f32_e32 v234, v35, v234                              // 000000004E00: 03D5D523
	v_mfma_f32_32x32x16_bf16 v[128:143], a[188:191], a[44:47], v[128:143]// 000000004E04: D3B70080 1E0259BC
	ds_read_b64_tr_b16 a[88:89], v31 offset:4352               // 000000004E0C: DBC61100 5800001F
	ds_read_b64_tr_b16 a[90:91], v31 offset:4864               // 000000004E14: DBC61300 5A00001F
	ds_read_b64_tr_b16 a[92:93], v31 offset:6528               // 000000004E1C: DBC61980 5C00001F
	ds_read_b64_tr_b16 a[94:95], v31 offset:7040               // 000000004E24: DBC61B80 5E00001F
	v_add_f32_e32 v234, v36, v234                              // 000000004E2C: 03D5D524
	v_add_f32_e32 v234, v37, v234                              // 000000004E30: 03D5D525
	v_mfma_f32_32x32x16_bf16 v[144:159], a[192:195], a[0:3], 0 // 000000004E34: D3B70090 1A0201C0
	v_add_f32_e32 v234, v38, v234                              // 000000004E3C: 03D5D526
	v_add_f32_e32 v234, v39, v234                              // 000000004E40: 03D5D527
	v_add_f32_e32 v234, v40, v234                              // 000000004E44: 03D5D528
	v_add_f32_e32 v234, v41, v234                              // 000000004E48: 03D5D529
	v_add_f32_e32 v234, v42, v234                              // 000000004E4C: 03D5D52A
	v_add_f32_e32 v234, v43, v234                              // 000000004E50: 03D5D52B
	v_mfma_f32_32x32x16_bf16 v[144:159], a[196:199], a[4:7], v[144:159]// 000000004E54: D3B70090 1E4209C4
	ds_read_b64_tr_b16 a[96:97], v31 offset:64                 // 000000004E5C: DBC60040 6000001F
	ds_read_b64_tr_b16 a[98:99], v31 offset:576                // 000000004E64: DBC60240 6200001F
	ds_read_b64_tr_b16 a[100:101], v31 offset:2240             // 000000004E6C: DBC608C0 6400001F
	ds_read_b64_tr_b16 a[102:103], v31 offset:2752             // 000000004E74: DBC60AC0 6600001F
	v_add_f32_e32 v234, v44, v234                              // 000000004E7C: 03D5D52C
	v_add_f32_e32 v234, v45, v234                              // 000000004E80: 03D5D52D
	v_mfma_f32_32x32x16_bf16 v[144:159], a[200:203], a[8:11], v[144:159]// 000000004E84: D3B70090 1E4211C8
	v_add_f32_e32 v234, v46, v234                              // 000000004E8C: 03D5D52E
	v_add_f32_e32 v234, v47, v234                              // 000000004E90: 03D5D52F
	v_add_f32_e32 v234, v48, v234                              // 000000004E94: 03D5D530
	v_add_f32_e32 v234, v49, v234                              // 000000004E98: 03D5D531
	v_add_f32_e32 v234, v50, v234                              // 000000004E9C: 03D5D532
	v_add_f32_e32 v234, v51, v234                              // 000000004EA0: 03D5D533
	v_mfma_f32_32x32x16_bf16 v[144:159], a[204:207], a[12:15], v[144:159]// 000000004EA4: D3B70090 1E4219CC
	ds_read_b64_tr_b16 a[104:105], v31 offset:4416             // 000000004EAC: DBC61140 6800001F
	ds_read_b64_tr_b16 a[106:107], v31 offset:4928             // 000000004EB4: DBC61340 6A00001F
	ds_read_b64_tr_b16 a[108:109], v31 offset:6592             // 000000004EBC: DBC619C0 6C00001F
	ds_read_b64_tr_b16 a[110:111], v31 offset:7104             // 000000004EC4: DBC61BC0 6E00001F
	v_add_f32_e32 v234, v52, v234                              // 000000004ECC: 03D5D534
	v_add_f32_e32 v234, v53, v234                              // 000000004ED0: 03D5D535
	v_mfma_f32_32x32x16_bf16 v[144:159], a[208:211], a[16:19], v[144:159]// 000000004ED4: D3B70090 1E4221D0
	v_add_f32_e32 v234, v54, v234                              // 000000004EDC: 03D5D536
	v_add_f32_e32 v234, v55, v234                              // 000000004EE0: 03D5D537
	v_add_f32_e32 v234, v56, v234                              // 000000004EE4: 03D5D538
	v_add_f32_e32 v234, v57, v234                              // 000000004EE8: 03D5D539
	v_add_f32_e32 v234, v58, v234                              // 000000004EEC: 03D5D53A
	v_add_f32_e32 v234, v59, v234                              // 000000004EF0: 03D5D53B
	v_mfma_f32_32x32x16_bf16 v[144:159], a[212:215], a[20:23], v[144:159]// 000000004EF4: D3B70090 1E4229D4
	v_add_f32_e32 v234, v60, v234                              // 000000004EFC: 03D5D53C
	v_add_f32_e32 v234, v61, v234                              // 000000004F00: 03D5D53D
	v_add_f32_e32 v234, v62, v234                              // 000000004F04: 03D5D53E
	v_add_f32_e32 v234, v63, v234                              // 000000004F08: 03D5D53F
	v_nop                                                      // 000000004F0C: 7E000000
	v_cvt_pk_bf16_f32 v32, v32, v33                            // 000000004F10: D2680020 00024320
	v_mfma_f32_32x32x16_bf16 v[144:159], a[216:219], a[24:27], v[144:159]// 000000004F18: D3B70090 1E4231D8
	v_cvt_pk_bf16_f32 v33, v34, v35                            // 000000004F20: D2680021 00024722
	v_cvt_pk_bf16_f32 v34, v36, v37                            // 000000004F28: D2680022 00024B24
	v_cvt_pk_bf16_f32 v35, v38, v39                            // 000000004F30: D2680023 00024F26
	v_cvt_pk_bf16_f32 v36, v40, v41                            // 000000004F38: D2680024 00025328
	v_cvt_pk_bf16_f32 v37, v42, v43                            // 000000004F40: D2680025 0002572A
	v_cvt_pk_bf16_f32 v38, v44, v45                            // 000000004F48: D2680026 00025B2C
	v_mfma_f32_32x32x16_bf16 v[144:159], a[220:223], a[28:31], v[144:159]// 000000004F50: D3B70090 1E4239DC
	v_cvt_pk_bf16_f32 v39, v46, v47                            // 000000004F58: D2680027 00025F2E
	v_cvt_pk_bf16_f32 v40, v48, v49                            // 000000004F60: D2680028 00026330
	v_cvt_pk_bf16_f32 v41, v50, v51                            // 000000004F68: D2680029 00026732
	v_cvt_pk_bf16_f32 v42, v52, v53                            // 000000004F70: D268002A 00026B34
	v_cvt_pk_bf16_f32 v43, v54, v55                            // 000000004F78: D268002B 00026F36
	v_cvt_pk_bf16_f32 v44, v56, v57                            // 000000004F80: D268002C 00027338
	v_mfma_f32_32x32x16_bf16 v[144:159], a[224:227], a[32:35], v[144:159]// 000000004F88: D3B70090 1E4241E0
	v_cvt_pk_bf16_f32 v45, v58, v59                            // 000000004F90: D268002D 0002773A
	v_cvt_pk_bf16_f32 v46, v60, v61                            // 000000004F98: D268002E 00027B3C
	v_cvt_pk_bf16_f32 v47, v62, v63                            // 000000004FA0: D268002F 00027F3E
	v_nop                                                      // 000000004FA8: 7E000000
	v_mov_b32_e32 v235, 0                                      // 000000004FAC: 7FD60280
	v_pk_add_f32 v[234:235], v[64:65], v[234:235]              // 000000004FB0: D3B240EA 1803D540
	v_pk_add_f32 v[234:235], v[66:67], v[234:235]              // 000000004FB8: D3B240EA 1803D542
	v_pk_add_f32 v[234:235], v[68:69], v[234:235]              // 000000004FC0: D3B240EA 1803D544
	v_pk_add_f32 v[234:235], v[70:71], v[234:235]              // 000000004FC8: D3B240EA 1803D546
	v_pk_add_f32 v[234:235], v[72:73], v[234:235]              // 000000004FD0: D3B240EA 1803D548
	v_pk_add_f32 v[234:235], v[74:75], v[234:235]              // 000000004FD8: D3B240EA 1803D54A
	v_pk_add_f32 v[234:235], v[76:77], v[234:235]              // 000000004FE0: D3B240EA 1803D54C
	v_pk_add_f32 v[234:235], v[78:79], v[234:235]              // 000000004FE8: D3B240EA 1803D54E
	v_pk_add_f32 v[234:235], v[80:81], v[234:235]              // 000000004FF0: D3B240EA 1803D550
	v_pk_add_f32 v[234:235], v[82:83], v[234:235]              // 000000004FF8: D3B240EA 1803D552
	v_pk_add_f32 v[234:235], v[84:85], v[234:235]              // 000000005000: D3B240EA 1803D554
	v_pk_add_f32 v[234:235], v[86:87], v[234:235]              // 000000005008: D3B240EA 1803D556
	v_pk_add_f32 v[234:235], v[88:89], v[234:235]              // 000000005010: D3B240EA 1803D558
	v_pk_add_f32 v[234:235], v[90:91], v[234:235]              // 000000005018: D3B240EA 1803D55A
	v_pk_add_f32 v[234:235], v[92:93], v[234:235]              // 000000005020: D3B240EA 1803D55C
	v_pk_add_f32 v[234:235], v[94:95], v[234:235]              // 000000005028: D3B240EA 1803D55E
	v_add_f32_e32 v234, v234, v235                             // 000000005030: 03D5D7EA
	v_mfma_f32_32x32x16_bf16 v[144:159], a[228:231], a[36:39], v[144:159]// 000000005034: D3B70090 1E4249E4
	v_mov_b32_e32 v238, v234                                   // 00000000503C: 7FDC03EA
	v_mul_f32_e32 v160, v230, v160                             // 000000005040: 0B4141E6
	v_mul_f32_e32 v161, v230, v161                             // 000000005044: 0B4343E6
	v_permlane32_swap_b32_e32 v238, v234                       // 000000005048: 7FDCB5EA
	v_add_f32_e32 v238, v238, v234                             // 00000000504C: 03DDD5EE
	v_mfma_f32_32x32x16_bf16 v[144:159], a[232:235], a[40:43], v[144:159]// 000000005050: D3B70090 1E4251E8
	v_add_f32_e32 v232, v238, v232                             // 000000005058: 03D1D1EE
	v_mov_b32_e32 v231, v230                                   // 00000000505C: 7FCE03E6
	v_cvt_pk_bf16_f32 v48, v64, v65                            // 000000005060: D2680030 00028340
	v_cvt_pk_bf16_f32 v49, v66, v67                            // 000000005068: D2680031 00028742
	v_cvt_pk_bf16_f32 v50, v68, v69                            // 000000005070: D2680032 00028B44
	v_cvt_pk_bf16_f32 v51, v70, v71                            // 000000005078: D2680033 00028F46
	s_add_i32 s56, s58, s56                                    // 000000005080: 8138383A
	s_nop 0                                                    // 000000005084: BF800000
	v_cvt_pk_bf16_f32 v52, v72, v73                            // 000000005088: D2680034 00029348
	v_cvt_pk_bf16_f32 v53, v74, v75                            // 000000005090: D2680035 0002974A
	v_cvt_pk_bf16_f32 v54, v76, v77                            // 000000005098: D2680036 00029B4C
	v_cvt_pk_bf16_f32 v55, v78, v79                            // 0000000050A0: D2680037 00029F4E
	v_cvt_pk_bf16_f32 v56, v80, v81                            // 0000000050A8: D2680038 0002A350
	v_cvt_pk_bf16_f32 v57, v82, v83                            // 0000000050B0: D2680039 0002A752
	v_cvt_pk_bf16_f32 v58, v84, v85                            // 0000000050B8: D268003A 0002AB54
	v_cvt_pk_bf16_f32 v59, v86, v87                            // 0000000050C0: D268003B 0002AF56
	v_cvt_pk_bf16_f32 v60, v88, v89                            // 0000000050C8: D268003C 0002B358
	v_cvt_pk_bf16_f32 v61, v90, v91                            // 0000000050D0: D268003D 0002B75A
	v_cvt_pk_bf16_f32 v62, v92, v93                            // 0000000050D8: D268003E 0002BB5C
	v_cvt_pk_bf16_f32 v63, v94, v95                            // 0000000050E0: D268003F 0002BF5E
	v_pk_mul_f32 v[162:163], v[230:231], v[162:163]            // 0000000050E8: D3B140A2 180345E6
	v_pk_mul_f32 v[164:165], v[230:231], v[164:165]            // 0000000050F0: D3B140A4 180349E6
	v_pk_mul_f32 v[166:167], v[230:231], v[166:167]            // 0000000050F8: D3B140A6 18034DE6
	v_pk_mul_f32 v[168:169], v[230:231], v[168:169]            // 000000005100: D3B140A8 180351E6
	v_pk_mul_f32 v[170:171], v[230:231], v[170:171]            // 000000005108: D3B140AA 180355E6
	v_pk_mul_f32 v[172:173], v[230:231], v[172:173]            // 000000005110: D3B140AC 180359E6
	v_pk_mul_f32 v[174:175], v[230:231], v[174:175]            // 000000005118: D3B140AE 18035DE6
	v_pk_mul_f32 v[176:177], v[230:231], v[176:177]            // 000000005120: D3B140B0 180361E6
	v_pk_mul_f32 v[178:179], v[230:231], v[178:179]            // 000000005128: D3B140B2 180365E6
	v_pk_mul_f32 v[180:181], v[230:231], v[180:181]            // 000000005130: D3B140B4 180369E6
	v_pk_mul_f32 v[182:183], v[230:231], v[182:183]            // 000000005138: D3B140B6 18036DE6
	v_pk_mul_f32 v[184:185], v[230:231], v[184:185]            // 000000005140: D3B140B8 180371E6
	v_pk_mul_f32 v[186:187], v[230:231], v[186:187]            // 000000005148: D3B140BA 180375E6
	v_pk_mul_f32 v[188:189], v[230:231], v[188:189]            // 000000005150: D3B140BC 180379E6
	v_pk_mul_f32 v[190:191], v[230:231], v[190:191]            // 000000005158: D3B140BE 18037DE6
	v_pk_mul_f32 v[192:193], v[230:231], v[192:193]            // 000000005160: D3B140C0 180381E6
	v_pk_mul_f32 v[194:195], v[230:231], v[194:195]            // 000000005168: D3B140C2 180385E6
	v_pk_mul_f32 v[196:197], v[230:231], v[196:197]            // 000000005170: D3B140C4 180389E6
	v_pk_mul_f32 v[198:199], v[230:231], v[198:199]            // 000000005178: D3B140C6 18038DE6
	v_pk_mul_f32 v[200:201], v[230:231], v[200:201]            // 000000005180: D3B140C8 180391E6
	v_pk_mul_f32 v[202:203], v[230:231], v[202:203]            // 000000005188: D3B140CA 180395E6
	v_pk_mul_f32 v[204:205], v[230:231], v[204:205]            // 000000005190: D3B140CC 180399E6
	v_pk_mul_f32 v[206:207], v[230:231], v[206:207]            // 000000005198: D3B140CE 18039DE6
	v_pk_mul_f32 v[208:209], v[230:231], v[208:209]            // 0000000051A0: D3B140D0 1803A1E6
	v_pk_mul_f32 v[210:211], v[230:231], v[210:211]            // 0000000051A8: D3B140D2 1803A5E6
	v_pk_mul_f32 v[212:213], v[230:231], v[212:213]            // 0000000051B0: D3B140D4 1803A9E6
	v_pk_mul_f32 v[214:215], v[230:231], v[214:215]            // 0000000051B8: D3B140D6 1803ADE6
	v_pk_mul_f32 v[216:217], v[230:231], v[216:217]            // 0000000051C0: D3B140D8 1803B1E6
	v_pk_mul_f32 v[218:219], v[230:231], v[218:219]            // 0000000051C8: D3B140DA 1803B5E6
	v_pk_mul_f32 v[220:221], v[230:231], v[220:221]            // 0000000051D0: D3B140DC 1803B9E6
	v_pk_mul_f32 v[222:223], v[230:231], v[222:223]            // 0000000051D8: D3B140DE 1803BDE6
	s_nop 0                                                    // 0000000051E0: BF800000
	s_cmp_lt_i32 s62, s65                                      // 0000000051E4: BF04413E
	v_mfma_f32_32x32x16_bf16 v[144:159], a[236:239], a[44:47], v[144:159]// 0000000051E8: D3B70090 1E4259EC
	s_cbranch_scc1 label_08C2                                  // 0000000051F0: BF850105
	s_sub_i32 s72, s38, s62                                    // 0000000051F4: 81C83E26
	v_sub_i32 v226, s72, v241                                  // 0000000051F8: D29D00E2 0003E248
	v_cmp_lt_i32_e64 s[68:69], 0, v226                         // 000000005200: D0C10044 0003C480
	v_cmp_lt_i32_e64 s[70:71], 1, v226                         // 000000005208: D0C10046 0003C481
	v_cndmask_b32_e64 v96, v225, v96, s[68:69]                 // 000000005210: D1000060 0112C1E1
	v_cndmask_b32_e64 v97, v225, v97, s[70:71]                 // 000000005218: D1000061 011AC3E1
	v_cmp_lt_i32_e64 s[68:69], 2, v226                         // 000000005220: D0C10044 0003C482
	v_cmp_lt_i32_e64 s[70:71], 3, v226                         // 000000005228: D0C10046 0003C483
	v_cndmask_b32_e64 v98, v225, v98, s[68:69]                 // 000000005230: D1000062 0112C5E1
	v_cndmask_b32_e64 v99, v225, v99, s[70:71]                 // 000000005238: D1000063 011AC7E1
	v_cmp_lt_i32_e64 s[68:69], 8, v226                         // 000000005240: D0C10044 0003C488
	v_cmp_lt_i32_e64 s[70:71], 9, v226                         // 000000005248: D0C10046 0003C489
	v_cndmask_b32_e64 v100, v225, v100, s[68:69]               // 000000005250: D1000064 0112C9E1
	v_cndmask_b32_e64 v101, v225, v101, s[70:71]               // 000000005258: D1000065 011ACBE1
	v_cmp_lt_i32_e64 s[68:69], 10, v226                        // 000000005260: D0C10044 0003C48A
	v_cmp_lt_i32_e64 s[70:71], 11, v226                        // 000000005268: D0C10046 0003C48B
	v_cndmask_b32_e64 v102, v225, v102, s[68:69]               // 000000005270: D1000066 0112CDE1
	v_cndmask_b32_e64 v103, v225, v103, s[70:71]               // 000000005278: D1000067 011ACFE1
	v_cmp_lt_i32_e64 s[68:69], 16, v226                        // 000000005280: D0C10044 0003C490
	v_cmp_lt_i32_e64 s[70:71], 17, v226                        // 000000005288: D0C10046 0003C491
	v_cndmask_b32_e64 v104, v225, v104, s[68:69]               // 000000005290: D1000068 0112D1E1
	v_cndmask_b32_e64 v105, v225, v105, s[70:71]               // 000000005298: D1000069 011AD3E1
	v_cmp_lt_i32_e64 s[68:69], 18, v226                        // 0000000052A0: D0C10044 0003C492
	v_cmp_lt_i32_e64 s[70:71], 19, v226                        // 0000000052A8: D0C10046 0003C493
	v_cndmask_b32_e64 v106, v225, v106, s[68:69]               // 0000000052B0: D100006A 0112D5E1
	v_cndmask_b32_e64 v107, v225, v107, s[70:71]               // 0000000052B8: D100006B 011AD7E1
	v_cmp_lt_i32_e64 s[68:69], 24, v226                        // 0000000052C0: D0C10044 0003C498
	v_cmp_lt_i32_e64 s[70:71], 25, v226                        // 0000000052C8: D0C10046 0003C499
	v_cndmask_b32_e64 v108, v225, v108, s[68:69]               // 0000000052D0: D100006C 0112D9E1
	v_cndmask_b32_e64 v109, v225, v109, s[70:71]               // 0000000052D8: D100006D 011ADBE1
	v_cmp_lt_i32_e64 s[68:69], 26, v226                        // 0000000052E0: D0C10044 0003C49A
	v_cmp_lt_i32_e64 s[70:71], 27, v226                        // 0000000052E8: D0C10046 0003C49B
	v_cndmask_b32_e64 v110, v225, v110, s[68:69]               // 0000000052F0: D100006E 0112DDE1
	v_cndmask_b32_e64 v111, v225, v111, s[70:71]               // 0000000052F8: D100006F 011ADFE1
	v_cmp_lt_i32_e64 s[68:69], 32, v226                        // 000000005300: D0C10044 0003C4A0
	v_cmp_lt_i32_e64 s[70:71], 33, v226                        // 000000005308: D0C10046 0003C4A1
	v_cndmask_b32_e64 v112, v225, v112, s[68:69]               // 000000005310: D1000070 0112E1E1
	v_cndmask_b32_e64 v113, v225, v113, s[70:71]               // 000000005318: D1000071 011AE3E1
	v_cmp_lt_i32_e64 s[68:69], 34, v226                        // 000000005320: D0C10044 0003C4A2
	v_cmp_lt_i32_e64 s[70:71], 35, v226                        // 000000005328: D0C10046 0003C4A3
	v_cndmask_b32_e64 v114, v225, v114, s[68:69]               // 000000005330: D1000072 0112E5E1
	v_cndmask_b32_e64 v115, v225, v115, s[70:71]               // 000000005338: D1000073 011AE7E1
	v_cmp_lt_i32_e64 s[68:69], 40, v226                        // 000000005340: D0C10044 0003C4A8
	v_cmp_lt_i32_e64 s[70:71], 41, v226                        // 000000005348: D0C10046 0003C4A9
	v_cndmask_b32_e64 v116, v225, v116, s[68:69]               // 000000005350: D1000074 0112E9E1
	v_cndmask_b32_e64 v117, v225, v117, s[70:71]               // 000000005358: D1000075 011AEBE1
	v_cmp_lt_i32_e64 s[68:69], 42, v226                        // 000000005360: D0C10044 0003C4AA
	v_cmp_lt_i32_e64 s[70:71], 43, v226                        // 000000005368: D0C10046 0003C4AB
	v_cndmask_b32_e64 v118, v225, v118, s[68:69]               // 000000005370: D1000076 0112EDE1
	v_cndmask_b32_e64 v119, v225, v119, s[70:71]               // 000000005378: D1000077 011AEFE1
	v_cmp_lt_i32_e64 s[68:69], 48, v226                        // 000000005380: D0C10044 0003C4B0
	v_cmp_lt_i32_e64 s[70:71], 49, v226                        // 000000005388: D0C10046 0003C4B1
	v_cndmask_b32_e64 v120, v225, v120, s[68:69]               // 000000005390: D1000078 0112F1E1
	v_cndmask_b32_e64 v121, v225, v121, s[70:71]               // 000000005398: D1000079 011AF3E1
	v_cmp_lt_i32_e64 s[68:69], 50, v226                        // 0000000053A0: D0C10044 0003C4B2
	v_cmp_lt_i32_e64 s[70:71], 51, v226                        // 0000000053A8: D0C10046 0003C4B3
	v_cndmask_b32_e64 v122, v225, v122, s[68:69]               // 0000000053B0: D100007A 0112F5E1
	v_cndmask_b32_e64 v123, v225, v123, s[70:71]               // 0000000053B8: D100007B 011AF7E1
	v_cmp_lt_i32_e64 s[68:69], 56, v226                        // 0000000053C0: D0C10044 0003C4B8
	v_cmp_lt_i32_e64 s[70:71], 57, v226                        // 0000000053C8: D0C10046 0003C4B9
	v_cndmask_b32_e64 v124, v225, v124, s[68:69]               // 0000000053D0: D100007C 0112F9E1
	v_cndmask_b32_e64 v125, v225, v125, s[70:71]               // 0000000053D8: D100007D 011AFBE1
	v_cmp_lt_i32_e64 s[68:69], 58, v226                        // 0000000053E0: D0C10044 0003C4BA
	v_cmp_lt_i32_e64 s[70:71], 59, v226                        // 0000000053E8: D0C10046 0003C4BB
	v_cndmask_b32_e64 v126, v225, v126, s[68:69]               // 0000000053F0: D100007E 0112FDE1
	v_cndmask_b32_e64 v127, v225, v127, s[70:71]               // 0000000053F8: D100007F 011AFFE1
	v_sub_i32 v226, v226, 64                                   // 000000005400: D29D00E2 000181E2
	v_cmp_lt_i32_e64 s[68:69], 0, v226                         // 000000005408: D0C10044 0003C480
	v_cmp_lt_i32_e64 s[70:71], 1, v226                         // 000000005410: D0C10046 0003C481
	v_cndmask_b32_e64 v128, v225, v128, s[68:69]               // 000000005418: D1000080 011301E1
	v_cndmask_b32_e64 v129, v225, v129, s[70:71]               // 000000005420: D1000081 011B03E1
	v_cmp_lt_i32_e64 s[68:69], 2, v226                         // 000000005428: D0C10044 0003C482
	v_cmp_lt_i32_e64 s[70:71], 3, v226                         // 000000005430: D0C10046 0003C483
	v_cndmask_b32_e64 v130, v225, v130, s[68:69]               // 000000005438: D1000082 011305E1
	v_cndmask_b32_e64 v131, v225, v131, s[70:71]               // 000000005440: D1000083 011B07E1
	v_cmp_lt_i32_e64 s[68:69], 8, v226                         // 000000005448: D0C10044 0003C488
	v_cmp_lt_i32_e64 s[70:71], 9, v226                         // 000000005450: D0C10046 0003C489
	v_cndmask_b32_e64 v132, v225, v132, s[68:69]               // 000000005458: D1000084 011309E1
	v_cndmask_b32_e64 v133, v225, v133, s[70:71]               // 000000005460: D1000085 011B0BE1
	v_cmp_lt_i32_e64 s[68:69], 10, v226                        // 000000005468: D0C10044 0003C48A
	v_cmp_lt_i32_e64 s[70:71], 11, v226                        // 000000005470: D0C10046 0003C48B
	v_cndmask_b32_e64 v134, v225, v134, s[68:69]               // 000000005478: D1000086 01130DE1
	v_cndmask_b32_e64 v135, v225, v135, s[70:71]               // 000000005480: D1000087 011B0FE1
	v_cmp_lt_i32_e64 s[68:69], 16, v226                        // 000000005488: D0C10044 0003C490
	v_cmp_lt_i32_e64 s[70:71], 17, v226                        // 000000005490: D0C10046 0003C491
	v_cndmask_b32_e64 v136, v225, v136, s[68:69]               // 000000005498: D1000088 011311E1
	v_cndmask_b32_e64 v137, v225, v137, s[70:71]               // 0000000054A0: D1000089 011B13E1
	v_cmp_lt_i32_e64 s[68:69], 18, v226                        // 0000000054A8: D0C10044 0003C492
	v_cmp_lt_i32_e64 s[70:71], 19, v226                        // 0000000054B0: D0C10046 0003C493
	v_cndmask_b32_e64 v138, v225, v138, s[68:69]               // 0000000054B8: D100008A 011315E1
	v_cndmask_b32_e64 v139, v225, v139, s[70:71]               // 0000000054C0: D100008B 011B17E1
	v_cmp_lt_i32_e64 s[68:69], 24, v226                        // 0000000054C8: D0C10044 0003C498
	v_cmp_lt_i32_e64 s[70:71], 25, v226                        // 0000000054D0: D0C10046 0003C499
	v_cndmask_b32_e64 v140, v225, v140, s[68:69]               // 0000000054D8: D100008C 011319E1
	v_cndmask_b32_e64 v141, v225, v141, s[70:71]               // 0000000054E0: D100008D 011B1BE1
	v_cmp_lt_i32_e64 s[68:69], 26, v226                        // 0000000054E8: D0C10044 0003C49A
	v_cmp_lt_i32_e64 s[70:71], 27, v226                        // 0000000054F0: D0C10046 0003C49B
	v_cndmask_b32_e64 v142, v225, v142, s[68:69]               // 0000000054F8: D100008E 01131DE1
	v_cndmask_b32_e64 v143, v225, v143, s[70:71]               // 000000005500: D100008F 011B1FE1
	v_cmp_lt_i32_e64 s[68:69], 32, v226                        // 000000005508: D0C10044 0003C4A0
	v_cmp_lt_i32_e64 s[70:71], 33, v226                        // 000000005510: D0C10046 0003C4A1
	v_cndmask_b32_e64 v144, v225, v144, s[68:69]               // 000000005518: D1000090 011321E1
	v_cndmask_b32_e64 v145, v225, v145, s[70:71]               // 000000005520: D1000091 011B23E1
	v_cmp_lt_i32_e64 s[68:69], 34, v226                        // 000000005528: D0C10044 0003C4A2
	v_cmp_lt_i32_e64 s[70:71], 35, v226                        // 000000005530: D0C10046 0003C4A3
	v_cndmask_b32_e64 v146, v225, v146, s[68:69]               // 000000005538: D1000092 011325E1
	v_cndmask_b32_e64 v147, v225, v147, s[70:71]               // 000000005540: D1000093 011B27E1
	v_cmp_lt_i32_e64 s[68:69], 40, v226                        // 000000005548: D0C10044 0003C4A8
	v_cmp_lt_i32_e64 s[70:71], 41, v226                        // 000000005550: D0C10046 0003C4A9
	v_cndmask_b32_e64 v148, v225, v148, s[68:69]               // 000000005558: D1000094 011329E1
	v_cndmask_b32_e64 v149, v225, v149, s[70:71]               // 000000005560: D1000095 011B2BE1
	v_cmp_lt_i32_e64 s[68:69], 42, v226                        // 000000005568: D0C10044 0003C4AA
	v_cmp_lt_i32_e64 s[70:71], 43, v226                        // 000000005570: D0C10046 0003C4AB
	v_cndmask_b32_e64 v150, v225, v150, s[68:69]               // 000000005578: D1000096 01132DE1
	v_cndmask_b32_e64 v151, v225, v151, s[70:71]               // 000000005580: D1000097 011B2FE1
	v_cmp_lt_i32_e64 s[68:69], 48, v226                        // 000000005588: D0C10044 0003C4B0
	v_cmp_lt_i32_e64 s[70:71], 49, v226                        // 000000005590: D0C10046 0003C4B1
	v_cndmask_b32_e64 v152, v225, v152, s[68:69]               // 000000005598: D1000098 011331E1
	v_cndmask_b32_e64 v153, v225, v153, s[70:71]               // 0000000055A0: D1000099 011B33E1
	v_cmp_lt_i32_e64 s[68:69], 50, v226                        // 0000000055A8: D0C10044 0003C4B2
	v_cmp_lt_i32_e64 s[70:71], 51, v226                        // 0000000055B0: D0C10046 0003C4B3
	v_cndmask_b32_e64 v154, v225, v154, s[68:69]               // 0000000055B8: D100009A 011335E1
	v_cndmask_b32_e64 v155, v225, v155, s[70:71]               // 0000000055C0: D100009B 011B37E1
	v_cmp_lt_i32_e64 s[68:69], 56, v226                        // 0000000055C8: D0C10044 0003C4B8
	v_cmp_lt_i32_e64 s[70:71], 57, v226                        // 0000000055D0: D0C10046 0003C4B9
	v_cndmask_b32_e64 v156, v225, v156, s[68:69]               // 0000000055D8: D100009C 011339E1
	v_cndmask_b32_e64 v157, v225, v157, s[70:71]               // 0000000055E0: D100009D 011B3BE1
	v_cmp_lt_i32_e64 s[68:69], 58, v226                        // 0000000055E8: D0C10044 0003C4BA
	v_cmp_lt_i32_e64 s[70:71], 59, v226                        // 0000000055F0: D0C10046 0003C4BB
	v_cndmask_b32_e64 v158, v225, v158, s[68:69]               // 0000000055F8: D100009E 01133DE1
	v_cndmask_b32_e64 v159, v225, v159, s[70:71]               // 000000005600: D100009F 011B3FE1

0000000000005608 <label_08C2>:
	s_waitcnt vmcnt(12) lgkmcnt(0)                             // 000000005608: BF8C007C
	s_barrier                                                  // 00000000560C: BF8A0000
	s_mov_b32 m0, s35                                          // 000000005610: BEFC0023
	v_mfma_f32_32x32x16_bf16 v[160:175], a[48:51], v[32:35], v[160:175]// 000000005614: D3B700A0 0E824130
	buffer_load_dwordx4 v19, s[16:19], s57 offen lds           // 00000000561C: E05D1000 39040013
	v_mov_b32_e32 v237, v233                                   // 000000005624: 7FDA03E9
	v_max3_f32 v237, v96, v97, v237                            // 000000005628: D1D300ED 07B6C360
	v_max3_f32 v237, v98, v99, v237                            // 000000005630: D1D300ED 07B6C762
	v_max3_f32 v237, v100, v101, v237                          // 000000005638: D1D300ED 07B6CB64
	v_mfma_f32_32x32x16_bf16 v[160:175], a[52:55], v[36:39], v[160:175]// 000000005640: D3B700A0 0E824934
	ds_read_b64_tr_b16 a[144:145], v30 offset:17408            // 000000005648: DBC64400 9000001E
	ds_read_b64_tr_b16 a[146:147], v30 offset:17920            // 000000005650: DBC64600 9200001E
	ds_read_b64_tr_b16 a[148:149], v30 offset:19584            // 000000005658: DBC64C80 9400001E
	ds_read_b64_tr_b16 a[150:151], v30 offset:20096            // 000000005660: DBC64E80 9600001E
	v_max3_f32 v237, v102, v103, v237                          // 000000005668: D1D300ED 07B6CF66
	v_max3_f32 v237, v104, v105, v237                          // 000000005670: D1D300ED 07B6D368
	v_mfma_f32_32x32x16_bf16 v[160:175], a[56:59], v[40:43], v[160:175]// 000000005678: D3B700A0 0E825138
	s_add_u32 m0, 0x1100, m0                                   // 000000005680: 807C7CFF 00001100
	buffer_load_dwordx4 v20, s[16:19], s57 offen lds           // 000000005688: E05D1000 39040014
	s_add_u32 m0, 0x1100, m0                                   // 000000005690: 807C7CFF 00001100
	v_max3_f32 v237, v106, v107, v237                          // 000000005698: D1D300ED 07B6D76A
	v_max3_f32 v237, v108, v109, v237                          // 0000000056A0: D1D300ED 07B6DB6C
	v_mfma_f32_32x32x16_bf16 v[160:175], a[60:63], v[44:47], v[160:175]// 0000000056A8: D3B700A0 0E82593C
	ds_read_b64_tr_b16 a[152:153], v30 offset:21760            // 0000000056B0: DBC65500 9800001E
	ds_read_b64_tr_b16 a[154:155], v30 offset:22272            // 0000000056B8: DBC65700 9A00001E
	ds_read_b64_tr_b16 a[156:157], v30 offset:23936            // 0000000056C0: DBC65D80 9C00001E
	ds_read_b64_tr_b16 a[158:159], v30 offset:24448            // 0000000056C8: DBC65F80 9E00001E
	v_max3_f32 v237, v110, v111, v237                          // 0000000056D0: D1D300ED 07B6DF6E
	v_max3_f32 v237, v112, v113, v237                          // 0000000056D8: D1D300ED 07B6E370
	v_mfma_f32_32x32x16_bf16 v[176:191], a[64:67], v[32:35], v[176:191]// 0000000056E0: D3B700B0 0EC24140
	buffer_load_dwordx4 v21, s[16:19], s57 offen lds           // 0000000056E8: E05D1000 39040015
	v_max3_f32 v237, v114, v115, v237                          // 0000000056F0: D1D300ED 07B6E772
	v_max3_f32 v237, v116, v117, v237                          // 0000000056F8: D1D300ED 07B6EB74
	v_max3_f32 v237, v118, v119, v237                          // 000000005700: D1D300ED 07B6EF76
	v_max3_f32 v237, v120, v121, v237                          // 000000005708: D1D300ED 07B6F378
	v_mfma_f32_32x32x16_bf16 v[176:191], a[68:71], v[36:39], v[176:191]// 000000005710: D3B700B0 0EC24944
	ds_read_b64_tr_b16 a[160:161], v30 offset:17472            // 000000005718: DBC64440 A000001E
	ds_read_b64_tr_b16 a[162:163], v30 offset:17984            // 000000005720: DBC64640 A200001E
	ds_read_b64_tr_b16 a[164:165], v30 offset:19648            // 000000005728: DBC64CC0 A400001E
	ds_read_b64_tr_b16 a[166:167], v30 offset:20160            // 000000005730: DBC64EC0 A600001E
	v_max3_f32 v237, v122, v123, v237                          // 000000005738: D1D300ED 07B6F77A
	v_max3_f32 v237, v124, v125, v237                          // 000000005740: D1D300ED 07B6FB7C
	v_mfma_f32_32x32x16_bf16 v[176:191], a[72:75], v[40:43], v[176:191]// 000000005748: D3B700B0 0EC25148
	s_add_u32 m0, 0x1100, m0                                   // 000000005750: 807C7CFF 00001100
	buffer_load_dwordx4 v22, s[16:19], s57 offen lds           // 000000005758: E05D1000 39040016
	s_add_u32 m0, 0x1100, m0                                   // 000000005760: 807C7CFF 00001100
	v_max3_f32 v237, v126, v127, v237                          // 000000005768: D1D300ED 07B6FF7E
	v_max3_f32 v237, v128, v129, v237                          // 000000005770: D1D300ED 07B70380
	v_mfma_f32_32x32x16_bf16 v[176:191], a[76:79], v[44:47], v[176:191]// 000000005778: D3B700B0 0EC2594C
	ds_read_b64_tr_b16 a[168:169], v30 offset:21824            // 000000005780: DBC65540 A800001E
	ds_read_b64_tr_b16 a[170:171], v30 offset:22336            // 000000005788: DBC65740 AA00001E
	ds_read_b64_tr_b16 a[172:173], v30 offset:24000            // 000000005790: DBC65DC0 AC00001E
	ds_read_b64_tr_b16 a[174:175], v30 offset:24512            // 000000005798: DBC65FC0 AE00001E
	v_max3_f32 v237, v130, v131, v237                          // 0000000057A0: D1D300ED 07B70782
	v_max3_f32 v237, v132, v133, v237                          // 0000000057A8: D1D300ED 07B70B84
	v_mfma_f32_32x32x16_bf16 v[192:207], a[80:83], v[32:35], v[192:207]// 0000000057B0: D3B700C0 0F024150
	v_max3_f32 v237, v134, v135, v237                          // 0000000057B8: D1D300ED 07B70F86
	v_max3_f32 v237, v136, v137, v237                          // 0000000057C0: D1D300ED 07B71388
	v_max3_f32 v237, v138, v139, v237                          // 0000000057C8: D1D300ED 07B7178A
	v_max3_f32 v237, v140, v141, v237                          // 0000000057D0: D1D300ED 07B71B8C
	v_max3_f32 v237, v142, v143, v237                          // 0000000057D8: D1D300ED 07B71F8E
	v_max3_f32 v237, v144, v145, v237                          // 0000000057E0: D1D300ED 07B72390
	v_mfma_f32_32x32x16_bf16 v[192:207], a[84:87], v[36:39], v[192:207]// 0000000057E8: D3B700C0 0F024954
	ds_read_b64_tr_b16 a[176:177], v31 offset:17408            // 0000000057F0: DBC64400 B000001F
	ds_read_b64_tr_b16 a[178:179], v31 offset:17920            // 0000000057F8: DBC64600 B200001F
	ds_read_b64_tr_b16 a[180:181], v31 offset:19584            // 000000005800: DBC64C80 B400001F
	ds_read_b64_tr_b16 a[182:183], v31 offset:20096            // 000000005808: DBC64E80 B600001F
	v_max3_f32 v237, v146, v147, v237                          // 000000005810: D1D300ED 07B72792
	v_max3_f32 v237, v148, v149, v237                          // 000000005818: D1D300ED 07B72B94
	v_mfma_f32_32x32x16_bf16 v[192:207], a[88:91], v[40:43], v[192:207]// 000000005820: D3B700C0 0F025158
	v_max3_f32 v237, v150, v151, v237                          // 000000005828: D1D300ED 07B72F96
	v_max3_f32 v237, v152, v153, v237                          // 000000005830: D1D300ED 07B73398
	v_max3_f32 v237, v154, v155, v237                          // 000000005838: D1D300ED 07B7379A
	v_max3_f32 v237, v156, v157, v237                          // 000000005840: D1D300ED 07B73B9C
	v_max3_f32 v237, v158, v159, v237                          // 000000005848: D1D300ED 07B73F9E
	v_mov_b32_e32 v238, v237                                   // 000000005850: 7FDC03ED
	v_mfma_f32_32x32x16_bf16 v[192:207], a[92:95], v[44:47], v[192:207]// 000000005854: D3B700C0 0F02595C
	ds_read_b64_tr_b16 a[184:185], v31 offset:21760            // 00000000585C: DBC65500 B800001F
	ds_read_b64_tr_b16 a[186:187], v31 offset:22272            // 000000005864: DBC65700 BA00001F
	ds_read_b64_tr_b16 a[188:189], v31 offset:23936            // 00000000586C: DBC65D80 BC00001F
	ds_read_b64_tr_b16 a[190:191], v31 offset:24448            // 000000005874: DBC65F80 BE00001F
	v_nop                                                      // 00000000587C: 7E000000
	v_nop                                                      // 000000005880: 7E000000
	v_mfma_f32_32x32x16_bf16 v[208:223], a[96:99], v[32:35], v[208:223]// 000000005884: D3B700D0 0F424160
	v_permlane32_swap_b32_e32 v238, v237                       // 00000000588C: 7FDCB5ED
	v_max_f32_e32 v237, v238, v237                             // 000000005890: 17DBDBEE
	v_sub_f32_e32 v230, v233, v237                             // 000000005894: 05CDDBE9
	v_mov_b32_e32 v233, v237                                   // 000000005898: 7FD203ED
	v_mul_f32_e32 v236, s32, v237                              // 00000000589C: 0BD9DA20
	v_mfma_f32_32x32x16_bf16 v[208:223], a[100:103], v[36:39], v[208:223]// 0000000058A0: D3B700D0 0F424964
	ds_read_b64_tr_b16 a[192:193], v31 offset:17472            // 0000000058A8: DBC64440 C000001F
	ds_read_b64_tr_b16 a[194:195], v31 offset:17984            // 0000000058B0: DBC64640 C200001F
	ds_read_b64_tr_b16 a[196:197], v31 offset:19648            // 0000000058B8: DBC64CC0 C400001F
	ds_read_b64_tr_b16 a[198:199], v31 offset:20160            // 0000000058C0: DBC64EC0 C600001F
	v_mul_f32_e32 v230, s32, v230                              // 0000000058C8: 0BCDCC20
	v_mfma_f32_32x32x16_bf16 v[208:223], a[104:107], v[40:43], v[208:223]// 0000000058CC: D3B700D0 0F425168
	v_exp_f32_e32 v230, v230                                   // 0000000058D4: 7FCC41E6
	v_fma_f32 v96, v96, s32, -v236                             // 0000000058D8: D1CB0060 87B04160
	v_fma_f32 v97, v97, s32, -v236                             // 0000000058E0: D1CB0061 87B04161
	v_fma_f32 v98, v98, s32, -v236                             // 0000000058E8: D1CB0062 87B04162
	v_fma_f32 v99, v99, s32, -v236                             // 0000000058F0: D1CB0063 87B04163
	v_mfma_f32_32x32x16_bf16 v[208:223], a[108:111], v[44:47], v[208:223]// 0000000058F8: D3B700D0 0F42596C
	ds_read_b64_tr_b16 a[200:201], v31 offset:21824            // 000000005900: DBC65540 C800001F
	ds_read_b64_tr_b16 a[202:203], v31 offset:22336            // 000000005908: DBC65740 CA00001F
	ds_read_b64_tr_b16 a[204:205], v31 offset:24000            // 000000005910: DBC65DC0 CC00001F
	ds_read_b64_tr_b16 a[206:207], v31 offset:24512            // 000000005918: DBC65FC0 CE00001F
	v_fma_f32 v100, v100, s32, -v236                           // 000000005920: D1CB0064 87B04164
	v_fma_f32 v101, v101, s32, -v236                           // 000000005928: D1CB0065 87B04165
	s_waitcnt vmcnt(10) lgkmcnt(8)                             // 000000005930: BF8C087A
	s_barrier                                                  // 000000005934: BF8A0000
	s_mov_b32 m0, s36                                          // 000000005938: BEFC0024
	v_mfma_f32_32x32x16_bf16 v[160:175], a[144:147], v[48:51], v[160:175]// 00000000593C: D3B700A0 0E826190
	buffer_load_dwordx4 v23, s[16:19], s57 offen lds           // 000000005944: E05D1000 39040017
	v_fma_f32 v102, v102, s32, -v236                           // 00000000594C: D1CB0066 87B04166
	v_fma_f32 v103, v103, s32, -v236                           // 000000005954: D1CB0067 87B04167
	v_fma_f32 v104, v104, s32, -v236                           // 00000000595C: D1CB0068 87B04168
	v_fma_f32 v105, v105, s32, -v236                           // 000000005964: D1CB0069 87B04169
	v_mfma_f32_32x32x16_bf16 v[160:175], a[148:151], v[52:55], v[160:175]// 00000000596C: D3B700A0 0E826994
	ds_read_b128 a[48:51], v27                                 // 000000005974: DBFE0000 3000001B
	ds_read_b128 a[52:55], v27 offset:32                       // 00000000597C: DBFE0020 3400001B
	ds_read_b128 a[56:59], v27 offset:64                       // 000000005984: DBFE0040 3800001B
	ds_read_b128 a[60:63], v27 offset:96                       // 00000000598C: DBFE0060 3C00001B
	v_fma_f32 v106, v106, s32, -v236                           // 000000005994: D1CB006A 87B0416A
	v_fma_f32 v107, v107, s32, -v236                           // 00000000599C: D1CB006B 87B0416B
	v_mfma_f32_32x32x16_bf16 v[160:175], a[152:155], v[56:59], v[160:175]// 0000000059A4: D3B700A0 0E827198
	s_add_u32 m0, 0x1100, m0                                   // 0000000059AC: 807C7CFF 00001100
	buffer_load_dwordx4 v24, s[16:19], s57 offen lds           // 0000000059B4: E05D1000 39040018
	s_add_u32 m0, 0x1100, m0                                   // 0000000059BC: 807C7CFF 00001100
	v_fma_f32 v108, v108, s32, -v236                           // 0000000059C4: D1CB006C 87B0416C
	v_fma_f32 v109, v109, s32, -v236                           // 0000000059CC: D1CB006D 87B0416D
	s_waitcnt lgkmcnt(4)                                       // 0000000059D4: BF8CC47F
	s_nop 0                                                    // 0000000059D8: BF800000
	v_mfma_f32_32x32x16_bf16 v[160:175], a[156:159], v[60:63], v[160:175]// 0000000059DC: D3B700A0 0E82799C
	ds_read_b128 a[64:67], v28                                 // 0000000059E4: DBFE0000 4000001C
	ds_read_b128 a[68:71], v28 offset:32                       // 0000000059EC: DBFE0020 4400001C
	ds_read_b128 a[72:75], v28 offset:64                       // 0000000059F4: DBFE0040 4800001C
	ds_read_b128 a[76:79], v28 offset:96                       // 0000000059FC: DBFE0060 4C00001C
	v_fma_f32 v110, v110, s32, -v236                           // 000000005A04: D1CB006E 87B0416E
	v_fma_f32 v111, v111, s32, -v236                           // 000000005A0C: D1CB006F 87B0416F
	v_mfma_f32_32x32x16_bf16 v[176:191], a[160:163], v[48:51], v[176:191]// 000000005A14: D3B700B0 0EC261A0
	buffer_load_dwordx4 v25, s[16:19], s57 offen lds           // 000000005A1C: E05D1000 39040019
	v_fma_f32 v112, v112, s32, -v236                           // 000000005A24: D1CB0070 87B04170
	v_fma_f32 v113, v113, s32, -v236                           // 000000005A2C: D1CB0071 87B04171
	v_fma_f32 v114, v114, s32, -v236                           // 000000005A34: D1CB0072 87B04172
	v_fma_f32 v115, v115, s32, -v236                           // 000000005A3C: D1CB0073 87B04173
	v_mfma_f32_32x32x16_bf16 v[176:191], a[164:167], v[52:55], v[176:191]// 000000005A44: D3B700B0 0EC269A4
	ds_read_b128 a[80:83], v29                                 // 000000005A4C: DBFE0000 5000001D
	ds_read_b128 a[84:87], v29 offset:32                       // 000000005A54: DBFE0020 5400001D
	ds_read_b128 a[88:91], v29 offset:64                       // 000000005A5C: DBFE0040 5800001D
	ds_read_b128 a[92:95], v29 offset:96                       // 000000005A64: DBFE0060 5C00001D
	v_fma_f32 v116, v116, s32, -v236                           // 000000005A6C: D1CB0074 87B04174
	v_fma_f32 v117, v117, s32, -v236                           // 000000005A74: D1CB0075 87B04175
	v_mfma_f32_32x32x16_bf16 v[176:191], a[168:171], v[56:59], v[176:191]// 000000005A7C: D3B700B0 0EC271A8
	s_add_u32 m0, 0x1100, m0                                   // 000000005A84: 807C7CFF 00001100
	buffer_load_dwordx4 v26, s[16:19], s57 offen lds           // 000000005A8C: E05D1000 3904001A
	s_add_u32 m0, 0x1100, m0                                   // 000000005A94: 807C7CFF 00001100
	v_fma_f32 v118, v118, s32, -v236                           // 000000005A9C: D1CB0076 87B04176
	v_fma_f32 v119, v119, s32, -v236                           // 000000005AA4: D1CB0077 87B04177
	v_mfma_f32_32x32x16_bf16 v[176:191], a[172:175], v[60:63], v[176:191]// 000000005AAC: D3B700B0 0EC279AC
	ds_read_b128 a[96:99], v27 offset:512                      // 000000005AB4: DBFE0200 6000001B
	ds_read_b128 a[100:103], v27 offset:544                    // 000000005ABC: DBFE0220 6400001B
	ds_read_b128 a[104:107], v27 offset:576                    // 000000005AC4: DBFE0240 6800001B
	ds_read_b128 a[108:111], v27 offset:608                    // 000000005ACC: DBFE0260 6C00001B
	v_fma_f32 v120, v120, s32, -v236                           // 000000005AD4: D1CB0078 87B04178
	v_fma_f32 v121, v121, s32, -v236                           // 000000005ADC: D1CB0079 87B04179
	v_mfma_f32_32x32x16_bf16 v[192:207], a[176:179], v[48:51], v[192:207]// 000000005AE4: D3B700C0 0F0261B0
	v_fma_f32 v122, v122, s32, -v236                           // 000000005AEC: D1CB007A 87B0417A
	v_fma_f32 v123, v123, s32, -v236                           // 000000005AF4: D1CB007B 87B0417B
	v_fma_f32 v124, v124, s32, -v236                           // 000000005AFC: D1CB007C 87B0417C
	v_fma_f32 v125, v125, s32, -v236                           // 000000005B04: D1CB007D 87B0417D
	v_fma_f32 v126, v126, s32, -v236                           // 000000005B0C: D1CB007E 87B0417E
	v_fma_f32 v127, v127, s32, -v236                           // 000000005B14: D1CB007F 87B0417F
	v_mfma_f32_32x32x16_bf16 v[192:207], a[180:183], v[52:55], v[192:207]// 000000005B1C: D3B700C0 0F0269B4
	ds_read_b128 a[112:115], v28 offset:512                    // 000000005B24: DBFE0200 7000001C
	ds_read_b128 a[116:119], v28 offset:544                    // 000000005B2C: DBFE0220 7400001C
	ds_read_b128 a[120:123], v28 offset:576                    // 000000005B34: DBFE0240 7800001C
	ds_read_b128 a[124:127], v28 offset:608                    // 000000005B3C: DBFE0260 7C00001C
	v_fma_f32 v128, v128, s32, -v236                           // 000000005B44: D1CB0080 87B04180
	v_fma_f32 v129, v129, s32, -v236                           // 000000005B4C: D1CB0081 87B04181
	v_mfma_f32_32x32x16_bf16 v[192:207], a[184:187], v[56:59], v[192:207]// 000000005B54: D3B700C0 0F0271B8
	v_fma_f32 v130, v130, s32, -v236                           // 000000005B5C: D1CB0082 87B04182
	v_fma_f32 v131, v131, s32, -v236                           // 000000005B64: D1CB0083 87B04183
	v_fma_f32 v132, v132, s32, -v236                           // 000000005B6C: D1CB0084 87B04184
	v_fma_f32 v133, v133, s32, -v236                           // 000000005B74: D1CB0085 87B04185
	v_fma_f32 v134, v134, s32, -v236                           // 000000005B7C: D1CB0086 87B04186
	v_fma_f32 v135, v135, s32, -v236                           // 000000005B84: D1CB0087 87B04187
	v_mfma_f32_32x32x16_bf16 v[192:207], a[188:191], v[60:63], v[192:207]// 000000005B8C: D3B700C0 0F0279BC
	ds_read_b128 a[128:131], v29 offset:512                    // 000000005B94: DBFE0200 8000001D
	ds_read_b128 a[132:135], v29 offset:544                    // 000000005B9C: DBFE0220 8400001D
	ds_read_b128 a[136:139], v29 offset:576                    // 000000005BA4: DBFE0240 8800001D
	ds_read_b128 a[140:143], v29 offset:608                    // 000000005BAC: DBFE0260 8C00001D
	v_fma_f32 v136, v136, s32, -v236                           // 000000005BB4: D1CB0088 87B04188
	v_fma_f32 v137, v137, s32, -v236                           // 000000005BBC: D1CB0089 87B04189
	v_mfma_f32_32x32x16_bf16 v[208:223], a[192:195], v[48:51], v[208:223]// 000000005BC4: D3B700D0 0F4261C0
	v_fma_f32 v138, v138, s32, -v236                           // 000000005BCC: D1CB008A 87B0418A
	v_fma_f32 v139, v139, s32, -v236                           // 000000005BD4: D1CB008B 87B0418B
	v_fma_f32 v140, v140, s32, -v236                           // 000000005BDC: D1CB008C 87B0418C
	v_fma_f32 v141, v141, s32, -v236                           // 000000005BE4: D1CB008D 87B0418D
	v_fma_f32 v142, v142, s32, -v236                           // 000000005BEC: D1CB008E 87B0418E
	v_fma_f32 v143, v143, s32, -v236                           // 000000005BF4: D1CB008F 87B0418F
	v_mfma_f32_32x32x16_bf16 v[208:223], a[196:199], v[52:55], v[208:223]// 000000005BFC: D3B700D0 0F4269C4
	v_fma_f32 v144, v144, s32, -v236                           // 000000005C04: D1CB0090 87B04190
	v_fma_f32 v145, v145, s32, -v236                           // 000000005C0C: D1CB0091 87B04191
	v_fma_f32 v146, v146, s32, -v236                           // 000000005C14: D1CB0092 87B04192
	v_fma_f32 v147, v147, s32, -v236                           // 000000005C1C: D1CB0093 87B04193
	v_fma_f32 v148, v148, s32, -v236                           // 000000005C24: D1CB0094 87B04194
	v_fma_f32 v149, v149, s32, -v236                           // 000000005C2C: D1CB0095 87B04195
	v_mfma_f32_32x32x16_bf16 v[208:223], a[200:203], v[56:59], v[208:223]// 000000005C34: D3B700D0 0F4271C8
	v_fma_f32 v150, v150, s32, -v236                           // 000000005C3C: D1CB0096 87B04196
	v_fma_f32 v151, v151, s32, -v236                           // 000000005C44: D1CB0097 87B04197
	v_fma_f32 v152, v152, s32, -v236                           // 000000005C4C: D1CB0098 87B04198
	v_fma_f32 v153, v153, s32, -v236                           // 000000005C54: D1CB0099 87B04199
	v_fma_f32 v154, v154, s32, -v236                           // 000000005C5C: D1CB009A 87B0419A
	v_fma_f32 v155, v155, s32, -v236                           // 000000005C64: D1CB009B 87B0419B
	s_add_i32 s57, s59, s57                                    // 000000005C6C: 8139393B
	v_fma_f32 v156, v156, s32, -v236                           // 000000005C70: D1CB009C 87B0419C
	v_fma_f32 v157, v157, s32, -v236                           // 000000005C78: D1CB009D 87B0419D
	v_fma_f32 v158, v158, s32, -v236                           // 000000005C80: D1CB009E 87B0419E
	v_fma_f32 v159, v159, s32, -v236                           // 000000005C88: D1CB009F 87B0419F
	v_exp_f32_e32 v96, v96                                     // 000000005C90: 7EC04160
	s_addk_i32 s61, 0x80                                       // 000000005C94: B73D0080
	s_add_i32 s62, s62, s63                                    // 000000005C98: 813E3F3E
	s_cmp_lt_i32 s61, s60                                      // 000000005C9C: BF043C3D
	s_nop 0                                                    // 000000005CA0: BF800000
	v_mfma_f32_32x32x16_bf16 v[208:223], a[204:207], v[60:63], v[208:223]// 000000005CA4: D3B700D0 0F4279CC
	s_cbranch_scc0 label_18B2                                  // 000000005CAC: BF840E46
	s_waitcnt vmcnt(8) lgkmcnt(0)                              // 000000005CB0: BF8C0078
	s_barrier                                                  // 000000005CB4: BF8A0000
	s_mov_b32 m0, s33                                          // 000000005CB8: BEFC0021
	v_mfma_f32_32x32x16_bf16 v[32:47], a[48:51], a[0:3], 0     // 000000005CBC: D3B70020 1A020130
	buffer_load_dwordx4 v7, s[12:15], s56 offen lds            // 000000005CC4: E05D1000 38030007
	v_exp_f32_e32 v97, v97                                     // 000000005CCC: 7EC24161
	v_exp_f32_e32 v98, v98                                     // 000000005CD0: 7EC44162
	v_mfma_f32_32x32x16_bf16 v[32:47], a[52:55], a[4:7], v[32:47]// 000000005CD4: D3B70020 1C820934
	ds_read_b128 a[144:147], v27 offset:24960                  // 000000005CDC: DBFE6180 9000001B
	ds_read_b128 a[148:151], v27 offset:24992                  // 000000005CE4: DBFE61A0 9400001B
	ds_read_b128 a[152:155], v27 offset:25024                  // 000000005CEC: DBFE61C0 9800001B
	ds_read_b128 a[156:159], v27 offset:25056                  // 000000005CF4: DBFE61E0 9C00001B
	v_exp_f32_e32 v99, v99                                     // 000000005CFC: 7EC64163
	v_mfma_f32_32x32x16_bf16 v[32:47], a[56:59], a[8:11], v[32:47]// 000000005D00: D3B70020 1C821138
	s_add_u32 m0, 0x1040, m0                                   // 000000005D08: 807C7CFF 00001040
	buffer_load_dwordx4 v8, s[12:15], s56 offen lds            // 000000005D10: E05D1000 38030008
	s_add_u32 m0, 0x1040, m0                                   // 000000005D18: 807C7CFF 00001040
	v_exp_f32_e32 v100, v100                                   // 000000005D20: 7EC84164
	v_mfma_f32_32x32x16_bf16 v[32:47], a[60:63], a[12:15], v[32:47]// 000000005D24: D3B70020 1C82193C
	ds_read_b128 a[160:163], v28 offset:24960                  // 000000005D2C: DBFE6180 A000001C
	ds_read_b128 a[164:167], v28 offset:24992                  // 000000005D34: DBFE61A0 A400001C
	ds_read_b128 a[168:171], v28 offset:25024                  // 000000005D3C: DBFE61C0 A800001C
	ds_read_b128 a[172:175], v28 offset:25056                  // 000000005D44: DBFE61E0 AC00001C
	v_exp_f32_e32 v101, v101                                   // 000000005D4C: 7ECA4165
	v_mfma_f32_32x32x16_bf16 v[32:47], a[64:67], a[16:19], v[32:47]// 000000005D50: D3B70020 1C822140
	buffer_load_dwordx4 v9, s[12:15], s56 offen lds            // 000000005D58: E05D1000 38030009
	v_exp_f32_e32 v102, v102                                   // 000000005D60: 7ECC4166
	v_exp_f32_e32 v103, v103                                   // 000000005D64: 7ECE4167
	v_mfma_f32_32x32x16_bf16 v[32:47], a[68:71], a[20:23], v[32:47]// 000000005D68: D3B70020 1C822944
	ds_read_b128 a[176:179], v29 offset:24960                  // 000000005D70: DBFE6180 B000001D
	ds_read_b128 a[180:183], v29 offset:24992                  // 000000005D78: DBFE61A0 B400001D
	ds_read_b128 a[184:187], v29 offset:25024                  // 000000005D80: DBFE61C0 B800001D
	ds_read_b128 a[188:191], v29 offset:25056                  // 000000005D88: DBFE61E0 BC00001D
	v_exp_f32_e32 v104, v104                                   // 000000005D90: 7ED04168
	v_mfma_f32_32x32x16_bf16 v[32:47], a[72:75], a[24:27], v[32:47]// 000000005D94: D3B70020 1C823148
	s_add_u32 m0, 0x1040, m0                                   // 000000005D9C: 807C7CFF 00001040
	buffer_load_dwordx4 v10, s[12:15], s56 offen lds           // 000000005DA4: E05D1000 3803000A
	s_add_u32 m0, 0x1040, m0                                   // 000000005DAC: 807C7CFF 00001040
	v_exp_f32_e32 v105, v105                                   // 000000005DB4: 7ED24169
	v_mfma_f32_32x32x16_bf16 v[32:47], a[76:79], a[28:31], v[32:47]// 000000005DB8: D3B70020 1C82394C
	ds_read_b128 a[192:195], v27 offset:25472                  // 000000005DC0: DBFE6380 C000001B
	ds_read_b128 a[196:199], v27 offset:25504                  // 000000005DC8: DBFE63A0 C400001B
	ds_read_b128 a[200:203], v27 offset:25536                  // 000000005DD0: DBFE63C0 C800001B
	ds_read_b128 a[204:207], v27 offset:25568                  // 000000005DD8: DBFE63E0 CC00001B
	v_exp_f32_e32 v106, v106                                   // 000000005DE0: 7ED4416A
	v_mfma_f32_32x32x16_bf16 v[32:47], a[80:83], a[32:35], v[32:47]// 000000005DE4: D3B70020 1C824150
	buffer_load_dwordx4 v11, s[12:15], s56 offen lds           // 000000005DEC: E05D1000 3803000B
	v_exp_f32_e32 v107, v107                                   // 000000005DF4: 7ED6416B
	v_exp_f32_e32 v108, v108                                   // 000000005DF8: 7ED8416C
	v_mfma_f32_32x32x16_bf16 v[32:47], a[84:87], a[36:39], v[32:47]// 000000005DFC: D3B70020 1C824954
	ds_read_b128 a[208:211], v28 offset:25472                  // 000000005E04: DBFE6380 D000001C
	ds_read_b128 a[212:215], v28 offset:25504                  // 000000005E0C: DBFE63A0 D400001C
	ds_read_b128 a[216:219], v28 offset:25536                  // 000000005E14: DBFE63C0 D800001C
	ds_read_b128 a[220:223], v28 offset:25568                  // 000000005E1C: DBFE63E0 DC00001C
	v_exp_f32_e32 v109, v109                                   // 000000005E24: 7EDA416D
	v_mfma_f32_32x32x16_bf16 v[32:47], a[88:91], a[40:43], v[32:47]// 000000005E28: D3B70020 1C825158
	s_add_u32 m0, 0x1040, m0                                   // 000000005E30: 807C7CFF 00001040
	buffer_load_dwordx4 v12, s[12:15], s56 offen lds           // 000000005E38: E05D1000 3803000C
	s_add_u32 m0, 0x1040, m0                                   // 000000005E40: 807C7CFF 00001040
	v_exp_f32_e32 v110, v110                                   // 000000005E48: 7EDC416E
	v_mfma_f32_32x32x16_bf16 v[32:47], a[92:95], a[44:47], v[32:47]// 000000005E4C: D3B70020 1C82595C
	ds_read_b128 a[224:227], v29 offset:25472                  // 000000005E54: DBFE6380 E000001D
	ds_read_b128 a[228:231], v29 offset:25504                  // 000000005E5C: DBFE63A0 E400001D
	ds_read_b128 a[232:235], v29 offset:25536                  // 000000005E64: DBFE63C0 E800001D
	ds_read_b128 a[236:239], v29 offset:25568                  // 000000005E6C: DBFE63E0 EC00001D
	v_exp_f32_e32 v111, v111                                   // 000000005E74: 7EDE416F
	v_mfma_f32_32x32x16_bf16 v[48:63], a[96:99], a[0:3], 0     // 000000005E78: D3B70030 1A020160
	v_exp_f32_e32 v112, v112                                   // 000000005E80: 7EE04170
	v_exp_f32_e32 v113, v113                                   // 000000005E84: 7EE24171
	v_exp_f32_e32 v114, v114                                   // 000000005E88: 7EE44172
	v_mfma_f32_32x32x16_bf16 v[48:63], a[100:103], a[4:7], v[48:63]// 000000005E8C: D3B70030 1CC20964
	v_exp_f32_e32 v115, v115                                   // 000000005E94: 7EE64173
	v_exp_f32_e32 v116, v116                                   // 000000005E98: 7EE84174
	v_exp_f32_e32 v117, v117                                   // 000000005E9C: 7EEA4175
	v_mfma_f32_32x32x16_bf16 v[48:63], a[104:107], a[8:11], v[48:63]// 000000005EA0: D3B70030 1CC21168
	v_exp_f32_e32 v118, v118                                   // 000000005EA8: 7EEC4176
	v_exp_f32_e32 v119, v119                                   // 000000005EAC: 7EEE4177
	v_exp_f32_e32 v120, v120                                   // 000000005EB0: 7EF04178
	v_mfma_f32_32x32x16_bf16 v[48:63], a[108:111], a[12:15], v[48:63]// 000000005EB4: D3B70030 1CC2196C
	v_exp_f32_e32 v121, v121                                   // 000000005EBC: 7EF24179
	v_exp_f32_e32 v122, v122                                   // 000000005EC0: 7EF4417A
	v_exp_f32_e32 v123, v123                                   // 000000005EC4: 7EF6417B
	v_mfma_f32_32x32x16_bf16 v[48:63], a[112:115], a[16:19], v[48:63]// 000000005EC8: D3B70030 1CC22170
	v_exp_f32_e32 v124, v124                                   // 000000005ED0: 7EF8417C
	v_exp_f32_e32 v125, v125                                   // 000000005ED4: 7EFA417D
	v_exp_f32_e32 v126, v126                                   // 000000005ED8: 7EFC417E
	v_mfma_f32_32x32x16_bf16 v[48:63], a[116:119], a[20:23], v[48:63]// 000000005EDC: D3B70030 1CC22974
	v_exp_f32_e32 v127, v127                                   // 000000005EE4: 7EFE417F
	v_exp_f32_e32 v128, v128                                   // 000000005EE8: 7F004180
	v_exp_f32_e32 v129, v129                                   // 000000005EEC: 7F024181
	v_mfma_f32_32x32x16_bf16 v[48:63], a[120:123], a[24:27], v[48:63]// 000000005EF0: D3B70030 1CC23178
	v_exp_f32_e32 v130, v130                                   // 000000005EF8: 7F044182
	v_exp_f32_e32 v131, v131                                   // 000000005EFC: 7F064183
	v_exp_f32_e32 v132, v132                                   // 000000005F00: 7F084184
	v_mfma_f32_32x32x16_bf16 v[48:63], a[124:127], a[28:31], v[48:63]// 000000005F04: D3B70030 1CC2397C
	v_exp_f32_e32 v133, v133                                   // 000000005F0C: 7F0A4185
	v_exp_f32_e32 v134, v134                                   // 000000005F10: 7F0C4186
	v_exp_f32_e32 v135, v135                                   // 000000005F14: 7F0E4187
	v_mfma_f32_32x32x16_bf16 v[48:63], a[128:131], a[32:35], v[48:63]// 000000005F18: D3B70030 1CC24180
	v_exp_f32_e32 v136, v136                                   // 000000005F20: 7F104188
	v_exp_f32_e32 v137, v137                                   // 000000005F24: 7F124189
	v_exp_f32_e32 v138, v138                                   // 000000005F28: 7F14418A
	v_mfma_f32_32x32x16_bf16 v[48:63], a[132:135], a[36:39], v[48:63]// 000000005F2C: D3B70030 1CC24984
	v_exp_f32_e32 v139, v139                                   // 000000005F34: 7F16418B
	v_exp_f32_e32 v140, v140                                   // 000000005F38: 7F18418C
	v_exp_f32_e32 v141, v141                                   // 000000005F3C: 7F1A418D
	v_mfma_f32_32x32x16_bf16 v[48:63], a[136:139], a[40:43], v[48:63]// 000000005F40: D3B70030 1CC25188
	v_exp_f32_e32 v142, v142                                   // 000000005F48: 7F1C418E
	v_exp_f32_e32 v143, v143                                   // 000000005F4C: 7F1E418F
	v_exp_f32_e32 v144, v144                                   // 000000005F50: 7F204190
	v_mfma_f32_32x32x16_bf16 v[48:63], a[140:143], a[44:47], v[48:63]// 000000005F54: D3B70030 1CC2598C
	v_exp_f32_e32 v145, v145                                   // 000000005F5C: 7F224191
	v_exp_f32_e32 v146, v146                                   // 000000005F60: 7F244192
	v_exp_f32_e32 v147, v147                                   // 000000005F64: 7F264193
	s_waitcnt vmcnt(10) lgkmcnt(0)                             // 000000005F68: BF8C007A
	s_barrier                                                  // 000000005F6C: BF8A0000
	s_mov_b32 m0, s34                                          // 000000005F70: BEFC0022
	v_mfma_f32_32x32x16_bf16 v[64:79], a[144:147], a[0:3], 0   // 000000005F74: D3B70040 1A020190
	buffer_load_dwordx4 v13, s[12:15], s56 offen lds           // 000000005F7C: E05D1000 3803000D
	v_exp_f32_e32 v148, v148                                   // 000000005F84: 7F284194
	v_exp_f32_e32 v149, v149                                   // 000000005F88: 7F2A4195
	v_mfma_f32_32x32x16_bf16 v[64:79], a[148:151], a[4:7], v[64:79]// 000000005F8C: D3B70040 1D020994
	ds_read_b64_tr_b16 a[48:49], v30                           // 000000005F94: DBC60000 3000001E
	ds_read_b64_tr_b16 a[50:51], v30 offset:512                // 000000005F9C: DBC60200 3200001E
	ds_read_b64_tr_b16 a[52:53], v30 offset:2176               // 000000005FA4: DBC60880 3400001E
	ds_read_b64_tr_b16 a[54:55], v30 offset:2688               // 000000005FAC: DBC60A80 3600001E
	v_exp_f32_e32 v150, v150                                   // 000000005FB4: 7F2C4196
	v_mfma_f32_32x32x16_bf16 v[64:79], a[152:155], a[8:11], v[64:79]// 000000005FB8: D3B70040 1D021198
	s_add_u32 m0, 0x1040, m0                                   // 000000005FC0: 807C7CFF 00001040
	buffer_load_dwordx4 v14, s[12:15], s56 offen lds           // 000000005FC8: E05D1000 3803000E
	s_add_u32 m0, 0x1040, m0                                   // 000000005FD0: 807C7CFF 00001040
	v_exp_f32_e32 v151, v151                                   // 000000005FD8: 7F2E4197
	v_mfma_f32_32x32x16_bf16 v[64:79], a[156:159], a[12:15], v[64:79]// 000000005FDC: D3B70040 1D02199C
	ds_read_b64_tr_b16 a[56:57], v30 offset:4352               // 000000005FE4: DBC61100 3800001E
	ds_read_b64_tr_b16 a[58:59], v30 offset:4864               // 000000005FEC: DBC61300 3A00001E
	ds_read_b64_tr_b16 a[60:61], v30 offset:6528               // 000000005FF4: DBC61980 3C00001E
	ds_read_b64_tr_b16 a[62:63], v30 offset:7040               // 000000005FFC: DBC61B80 3E00001E
	v_exp_f32_e32 v152, v152                                   // 000000006004: 7F304198
	v_mfma_f32_32x32x16_bf16 v[64:79], a[160:163], a[16:19], v[64:79]// 000000006008: D3B70040 1D0221A0
	buffer_load_dwordx4 v15, s[12:15], s56 offen lds           // 000000006010: E05D1000 3803000F
	v_exp_f32_e32 v153, v153                                   // 000000006018: 7F324199
	v_exp_f32_e32 v154, v154                                   // 00000000601C: 7F34419A
	v_mfma_f32_32x32x16_bf16 v[64:79], a[164:167], a[20:23], v[64:79]// 000000006020: D3B70040 1D0229A4
	ds_read_b64_tr_b16 a[64:65], v30 offset:64                 // 000000006028: DBC60040 4000001E
	ds_read_b64_tr_b16 a[66:67], v30 offset:576                // 000000006030: DBC60240 4200001E
	ds_read_b64_tr_b16 a[68:69], v30 offset:2240               // 000000006038: DBC608C0 4400001E
	ds_read_b64_tr_b16 a[70:71], v30 offset:2752               // 000000006040: DBC60AC0 4600001E
	v_exp_f32_e32 v155, v155                                   // 000000006048: 7F36419B
	v_mfma_f32_32x32x16_bf16 v[64:79], a[168:171], a[24:27], v[64:79]// 00000000604C: D3B70040 1D0231A8
	s_add_u32 m0, 0x1040, m0                                   // 000000006054: 807C7CFF 00001040
	buffer_load_dwordx4 v16, s[12:15], s56 offen lds           // 00000000605C: E05D1000 38030010
	s_add_u32 m0, 0x1040, m0                                   // 000000006064: 807C7CFF 00001040
	v_exp_f32_e32 v156, v156                                   // 00000000606C: 7F38419C
	v_mfma_f32_32x32x16_bf16 v[64:79], a[172:175], a[28:31], v[64:79]// 000000006070: D3B70040 1D0239AC
	ds_read_b64_tr_b16 a[72:73], v30 offset:4416               // 000000006078: DBC61140 4800001E
	ds_read_b64_tr_b16 a[74:75], v30 offset:4928               // 000000006080: DBC61340 4A00001E
	ds_read_b64_tr_b16 a[76:77], v30 offset:6592               // 000000006088: DBC619C0 4C00001E
	ds_read_b64_tr_b16 a[78:79], v30 offset:7104               // 000000006090: DBC61BC0 4E00001E
	v_exp_f32_e32 v157, v157                                   // 000000006098: 7F3A419D
	v_mfma_f32_32x32x16_bf16 v[64:79], a[176:179], a[32:35], v[64:79]// 00000000609C: D3B70040 1D0241B0
	buffer_load_dwordx4 v17, s[12:15], s56 offen lds           // 0000000060A4: E05D1000 38030011
	v_exp_f32_e32 v158, v158                                   // 0000000060AC: 7F3C419E
	v_exp_f32_e32 v159, v159                                   // 0000000060B0: 7F3E419F
	v_mfma_f32_32x32x16_bf16 v[64:79], a[180:183], a[36:39], v[64:79]// 0000000060B4: D3B70040 1D0249B4
	ds_read_b64_tr_b16 a[80:81], v31                           // 0000000060BC: DBC60000 5000001F
	ds_read_b64_tr_b16 a[82:83], v31 offset:512                // 0000000060C4: DBC60200 5200001F
	ds_read_b64_tr_b16 a[84:85], v31 offset:2176               // 0000000060CC: DBC60880 5400001F
	ds_read_b64_tr_b16 a[86:87], v31 offset:2688               // 0000000060D4: DBC60A80 5600001F
	v_mul_f32_e32 v232, v230, v232                             // 0000000060DC: 0BD1D1E6
	v_add_f32_e32 v234, v97, v96                               // 0000000060E0: 03D4C161
	v_mfma_f32_32x32x16_bf16 v[64:79], a[184:187], a[40:43], v[64:79]// 0000000060E4: D3B70040 1D0251B8
	s_add_u32 m0, 0x1040, m0                                   // 0000000060EC: 807C7CFF 00001040
	buffer_load_dwordx4 v18, s[12:15], s56 offen lds           // 0000000060F4: E05D1000 38030012
	s_add_u32 m0, 0x1040, m0                                   // 0000000060FC: 807C7CFF 00001040
	v_add_f32_e32 v234, v98, v234                              // 000000006104: 03D5D562
	v_add_f32_e32 v234, v99, v234                              // 000000006108: 03D5D563
	v_mfma_f32_32x32x16_bf16 v[64:79], a[188:191], a[44:47], v[64:79]// 00000000610C: D3B70040 1D0259BC
	ds_read_b64_tr_b16 a[88:89], v31 offset:4352               // 000000006114: DBC61100 5800001F
	ds_read_b64_tr_b16 a[90:91], v31 offset:4864               // 00000000611C: DBC61300 5A00001F
	ds_read_b64_tr_b16 a[92:93], v31 offset:6528               // 000000006124: DBC61980 5C00001F
	ds_read_b64_tr_b16 a[94:95], v31 offset:7040               // 00000000612C: DBC61B80 5E00001F
	v_add_f32_e32 v234, v100, v234                             // 000000006134: 03D5D564
	v_add_f32_e32 v234, v101, v234                             // 000000006138: 03D5D565
	v_mfma_f32_32x32x16_bf16 v[80:95], a[192:195], a[0:3], 0   // 00000000613C: D3B70050 1A0201C0
	v_add_f32_e32 v234, v102, v234                             // 000000006144: 03D5D566
	v_add_f32_e32 v234, v103, v234                             // 000000006148: 03D5D567
	v_add_f32_e32 v234, v104, v234                             // 00000000614C: 03D5D568
	v_add_f32_e32 v234, v105, v234                             // 000000006150: 03D5D569
	v_add_f32_e32 v234, v106, v234                             // 000000006154: 03D5D56A
	v_add_f32_e32 v234, v107, v234                             // 000000006158: 03D5D56B
	v_mfma_f32_32x32x16_bf16 v[80:95], a[196:199], a[4:7], v[80:95]// 00000000615C: D3B70050 1D4209C4
	ds_read_b64_tr_b16 a[96:97], v31 offset:64                 // 000000006164: DBC60040 6000001F
	ds_read_b64_tr_b16 a[98:99], v31 offset:576                // 00000000616C: DBC60240 6200001F
	ds_read_b64_tr_b16 a[100:101], v31 offset:2240             // 000000006174: DBC608C0 6400001F
	ds_read_b64_tr_b16 a[102:103], v31 offset:2752             // 00000000617C: DBC60AC0 6600001F
	v_add_f32_e32 v234, v108, v234                             // 000000006184: 03D5D56C
	v_add_f32_e32 v234, v109, v234                             // 000000006188: 03D5D56D
	v_mfma_f32_32x32x16_bf16 v[80:95], a[200:203], a[8:11], v[80:95]// 00000000618C: D3B70050 1D4211C8
	v_add_f32_e32 v234, v110, v234                             // 000000006194: 03D5D56E
	v_add_f32_e32 v234, v111, v234                             // 000000006198: 03D5D56F
	v_add_f32_e32 v234, v112, v234                             // 00000000619C: 03D5D570
	v_add_f32_e32 v234, v113, v234                             // 0000000061A0: 03D5D571
	v_add_f32_e32 v234, v114, v234                             // 0000000061A4: 03D5D572
	v_add_f32_e32 v234, v115, v234                             // 0000000061A8: 03D5D573
	v_mfma_f32_32x32x16_bf16 v[80:95], a[204:207], a[12:15], v[80:95]// 0000000061AC: D3B70050 1D4219CC
	ds_read_b64_tr_b16 a[104:105], v31 offset:4416             // 0000000061B4: DBC61140 6800001F
	ds_read_b64_tr_b16 a[106:107], v31 offset:4928             // 0000000061BC: DBC61340 6A00001F
	ds_read_b64_tr_b16 a[108:109], v31 offset:6592             // 0000000061C4: DBC619C0 6C00001F
	ds_read_b64_tr_b16 a[110:111], v31 offset:7104             // 0000000061CC: DBC61BC0 6E00001F
	v_add_f32_e32 v234, v116, v234                             // 0000000061D4: 03D5D574
	v_add_f32_e32 v234, v117, v234                             // 0000000061D8: 03D5D575
	v_mfma_f32_32x32x16_bf16 v[80:95], a[208:211], a[16:19], v[80:95]// 0000000061DC: D3B70050 1D4221D0
	v_add_f32_e32 v234, v118, v234                             // 0000000061E4: 03D5D576
	v_add_f32_e32 v234, v119, v234                             // 0000000061E8: 03D5D577
	v_add_f32_e32 v234, v120, v234                             // 0000000061EC: 03D5D578
	v_add_f32_e32 v234, v121, v234                             // 0000000061F0: 03D5D579
	v_add_f32_e32 v234, v122, v234                             // 0000000061F4: 03D5D57A
	v_add_f32_e32 v234, v123, v234                             // 0000000061F8: 03D5D57B
	v_mfma_f32_32x32x16_bf16 v[80:95], a[212:215], a[20:23], v[80:95]// 0000000061FC: D3B70050 1D4229D4
	v_add_f32_e32 v234, v124, v234                             // 000000006204: 03D5D57C
	v_add_f32_e32 v234, v125, v234                             // 000000006208: 03D5D57D
	v_add_f32_e32 v234, v126, v234                             // 00000000620C: 03D5D57E
	v_add_f32_e32 v234, v127, v234                             // 000000006210: 03D5D57F
	v_nop                                                      // 000000006214: 7E000000
	v_cvt_pk_bf16_f32 v96, v96, v97                            // 000000006218: D2680060 0002C360
	v_mfma_f32_32x32x16_bf16 v[80:95], a[216:219], a[24:27], v[80:95]// 000000006220: D3B70050 1D4231D8
	v_cvt_pk_bf16_f32 v97, v98, v99                            // 000000006228: D2680061 0002C762
	v_cvt_pk_bf16_f32 v98, v100, v101                          // 000000006230: D2680062 0002CB64
	v_cvt_pk_bf16_f32 v99, v102, v103                          // 000000006238: D2680063 0002CF66
	v_cvt_pk_bf16_f32 v100, v104, v105                         // 000000006240: D2680064 0002D368
	v_cvt_pk_bf16_f32 v101, v106, v107                         // 000000006248: D2680065 0002D76A
	v_cvt_pk_bf16_f32 v102, v108, v109                         // 000000006250: D2680066 0002DB6C
	v_mfma_f32_32x32x16_bf16 v[80:95], a[220:223], a[28:31], v[80:95]// 000000006258: D3B70050 1D4239DC
	v_cvt_pk_bf16_f32 v103, v110, v111                         // 000000006260: D2680067 0002DF6E
	v_cvt_pk_bf16_f32 v104, v112, v113                         // 000000006268: D2680068 0002E370
	v_cvt_pk_bf16_f32 v105, v114, v115                         // 000000006270: D2680069 0002E772
	v_cvt_pk_bf16_f32 v106, v116, v117                         // 000000006278: D268006A 0002EB74
	v_cvt_pk_bf16_f32 v107, v118, v119                         // 000000006280: D268006B 0002EF76
	v_cvt_pk_bf16_f32 v108, v120, v121                         // 000000006288: D268006C 0002F378
	v_mfma_f32_32x32x16_bf16 v[80:95], a[224:227], a[32:35], v[80:95]// 000000006290: D3B70050 1D4241E0
	v_cvt_pk_bf16_f32 v109, v122, v123                         // 000000006298: D268006D 0002F77A
	v_cvt_pk_bf16_f32 v110, v124, v125                         // 0000000062A0: D268006E 0002FB7C
	v_cvt_pk_bf16_f32 v111, v126, v127                         // 0000000062A8: D268006F 0002FF7E
	v_nop                                                      // 0000000062B0: 7E000000
	v_mov_b32_e32 v235, 0                                      // 0000000062B4: 7FD60280
	v_pk_add_f32 v[234:235], v[128:129], v[234:235]            // 0000000062B8: D3B240EA 1803D580
	v_pk_add_f32 v[234:235], v[130:131], v[234:235]            // 0000000062C0: D3B240EA 1803D582
	v_pk_add_f32 v[234:235], v[132:133], v[234:235]            // 0000000062C8: D3B240EA 1803D584
	v_pk_add_f32 v[234:235], v[134:135], v[234:235]            // 0000000062D0: D3B240EA 1803D586
	v_pk_add_f32 v[234:235], v[136:137], v[234:235]            // 0000000062D8: D3B240EA 1803D588
	v_pk_add_f32 v[234:235], v[138:139], v[234:235]            // 0000000062E0: D3B240EA 1803D58A
	v_pk_add_f32 v[234:235], v[140:141], v[234:235]            // 0000000062E8: D3B240EA 1803D58C
	v_pk_add_f32 v[234:235], v[142:143], v[234:235]            // 0000000062F0: D3B240EA 1803D58E
	v_pk_add_f32 v[234:235], v[144:145], v[234:235]            // 0000000062F8: D3B240EA 1803D590
	v_pk_add_f32 v[234:235], v[146:147], v[234:235]            // 000000006300: D3B240EA 1803D592
	v_pk_add_f32 v[234:235], v[148:149], v[234:235]            // 000000006308: D3B240EA 1803D594
	v_pk_add_f32 v[234:235], v[150:151], v[234:235]            // 000000006310: D3B240EA 1803D596
	v_pk_add_f32 v[234:235], v[152:153], v[234:235]            // 000000006318: D3B240EA 1803D598
	v_pk_add_f32 v[234:235], v[154:155], v[234:235]            // 000000006320: D3B240EA 1803D59A
	v_pk_add_f32 v[234:235], v[156:157], v[234:235]            // 000000006328: D3B240EA 1803D59C
	v_pk_add_f32 v[234:235], v[158:159], v[234:235]            // 000000006330: D3B240EA 1803D59E
	v_add_f32_e32 v234, v234, v235                             // 000000006338: 03D5D7EA
	v_mfma_f32_32x32x16_bf16 v[80:95], a[228:231], a[36:39], v[80:95]// 00000000633C: D3B70050 1D4249E4
	v_mov_b32_e32 v238, v234                                   // 000000006344: 7FDC03EA
	v_mul_f32_e32 v160, v230, v160                             // 000000006348: 0B4141E6
	v_mul_f32_e32 v161, v230, v161                             // 00000000634C: 0B4343E6
	v_permlane32_swap_b32_e32 v238, v234                       // 000000006350: 7FDCB5EA
	v_add_f32_e32 v238, v238, v234                             // 000000006354: 03DDD5EE
	v_mfma_f32_32x32x16_bf16 v[80:95], a[232:235], a[40:43], v[80:95]// 000000006358: D3B70050 1D4251E8
	v_add_f32_e32 v232, v238, v232                             // 000000006360: 03D1D1EE
	v_mov_b32_e32 v231, v230                                   // 000000006364: 7FCE03E6
	v_cvt_pk_bf16_f32 v112, v128, v129                         // 000000006368: D2680070 00030380
	v_cvt_pk_bf16_f32 v113, v130, v131                         // 000000006370: D2680071 00030782
	v_cvt_pk_bf16_f32 v114, v132, v133                         // 000000006378: D2680072 00030B84
	v_cvt_pk_bf16_f32 v115, v134, v135                         // 000000006380: D2680073 00030F86
	s_add_i32 s56, s58, s56                                    // 000000006388: 8138383A
	s_nop 0                                                    // 00000000638C: BF800000
	v_cvt_pk_bf16_f32 v116, v136, v137                         // 000000006390: D2680074 00031388
	v_cvt_pk_bf16_f32 v117, v138, v139                         // 000000006398: D2680075 0003178A
	v_cvt_pk_bf16_f32 v118, v140, v141                         // 0000000063A0: D2680076 00031B8C
	v_cvt_pk_bf16_f32 v119, v142, v143                         // 0000000063A8: D2680077 00031F8E
	v_cvt_pk_bf16_f32 v120, v144, v145                         // 0000000063B0: D2680078 00032390
	v_cvt_pk_bf16_f32 v121, v146, v147                         // 0000000063B8: D2680079 00032792
	v_cvt_pk_bf16_f32 v122, v148, v149                         // 0000000063C0: D268007A 00032B94
	v_cvt_pk_bf16_f32 v123, v150, v151                         // 0000000063C8: D268007B 00032F96
	v_cvt_pk_bf16_f32 v124, v152, v153                         // 0000000063D0: D268007C 00033398
	v_cvt_pk_bf16_f32 v125, v154, v155                         // 0000000063D8: D268007D 0003379A
	v_cvt_pk_bf16_f32 v126, v156, v157                         // 0000000063E0: D268007E 00033B9C
	v_cvt_pk_bf16_f32 v127, v158, v159                         // 0000000063E8: D268007F 00033F9E
	v_pk_mul_f32 v[162:163], v[230:231], v[162:163]            // 0000000063F0: D3B140A2 180345E6
	v_pk_mul_f32 v[164:165], v[230:231], v[164:165]            // 0000000063F8: D3B140A4 180349E6
	v_pk_mul_f32 v[166:167], v[230:231], v[166:167]            // 000000006400: D3B140A6 18034DE6
	v_pk_mul_f32 v[168:169], v[230:231], v[168:169]            // 000000006408: D3B140A8 180351E6
	v_pk_mul_f32 v[170:171], v[230:231], v[170:171]            // 000000006410: D3B140AA 180355E6
	v_pk_mul_f32 v[172:173], v[230:231], v[172:173]            // 000000006418: D3B140AC 180359E6
	v_pk_mul_f32 v[174:175], v[230:231], v[174:175]            // 000000006420: D3B140AE 18035DE6
	v_pk_mul_f32 v[176:177], v[230:231], v[176:177]            // 000000006428: D3B140B0 180361E6
	v_pk_mul_f32 v[178:179], v[230:231], v[178:179]            // 000000006430: D3B140B2 180365E6
	v_pk_mul_f32 v[180:181], v[230:231], v[180:181]            // 000000006438: D3B140B4 180369E6
	v_pk_mul_f32 v[182:183], v[230:231], v[182:183]            // 000000006440: D3B140B6 18036DE6
	v_pk_mul_f32 v[184:185], v[230:231], v[184:185]            // 000000006448: D3B140B8 180371E6
	v_pk_mul_f32 v[186:187], v[230:231], v[186:187]            // 000000006450: D3B140BA 180375E6
	v_pk_mul_f32 v[188:189], v[230:231], v[188:189]            // 000000006458: D3B140BC 180379E6
	v_pk_mul_f32 v[190:191], v[230:231], v[190:191]            // 000000006460: D3B140BE 18037DE6
	v_pk_mul_f32 v[192:193], v[230:231], v[192:193]            // 000000006468: D3B140C0 180381E6
	v_pk_mul_f32 v[194:195], v[230:231], v[194:195]            // 000000006470: D3B140C2 180385E6
	v_pk_mul_f32 v[196:197], v[230:231], v[196:197]            // 000000006478: D3B140C4 180389E6
	v_pk_mul_f32 v[198:199], v[230:231], v[198:199]            // 000000006480: D3B140C6 18038DE6
	v_pk_mul_f32 v[200:201], v[230:231], v[200:201]            // 000000006488: D3B140C8 180391E6
	v_pk_mul_f32 v[202:203], v[230:231], v[202:203]            // 000000006490: D3B140CA 180395E6
	v_pk_mul_f32 v[204:205], v[230:231], v[204:205]            // 000000006498: D3B140CC 180399E6
	v_pk_mul_f32 v[206:207], v[230:231], v[206:207]            // 0000000064A0: D3B140CE 18039DE6
	v_pk_mul_f32 v[208:209], v[230:231], v[208:209]            // 0000000064A8: D3B140D0 1803A1E6
	v_pk_mul_f32 v[210:211], v[230:231], v[210:211]            // 0000000064B0: D3B140D2 1803A5E6
	v_pk_mul_f32 v[212:213], v[230:231], v[212:213]            // 0000000064B8: D3B140D4 1803A9E6
	v_pk_mul_f32 v[214:215], v[230:231], v[214:215]            // 0000000064C0: D3B140D6 1803ADE6
	v_pk_mul_f32 v[216:217], v[230:231], v[216:217]            // 0000000064C8: D3B140D8 1803B1E6
	v_pk_mul_f32 v[218:219], v[230:231], v[218:219]            // 0000000064D0: D3B140DA 1803B5E6
	v_pk_mul_f32 v[220:221], v[230:231], v[220:221]            // 0000000064D8: D3B140DC 1803B9E6
	v_pk_mul_f32 v[222:223], v[230:231], v[222:223]            // 0000000064E0: D3B140DE 1803BDE6
	s_nop 0                                                    // 0000000064E8: BF800000
	s_cmp_lt_i32 s62, s65                                      // 0000000064EC: BF04413E
	v_mfma_f32_32x32x16_bf16 v[80:95], a[236:239], a[44:47], v[80:95]// 0000000064F0: D3B70050 1D4259EC
	s_cbranch_scc1 label_0D84                                  // 0000000064F8: BF850105
	s_sub_i32 s72, s38, s62                                    // 0000000064FC: 81C83E26
	v_sub_i32 v226, s72, v241                                  // 000000006500: D29D00E2 0003E248
	v_cmp_lt_i32_e64 s[68:69], 0, v226                         // 000000006508: D0C10044 0003C480
	v_cmp_lt_i32_e64 s[70:71], 1, v226                         // 000000006510: D0C10046 0003C481
	v_cndmask_b32_e64 v32, v225, v32, s[68:69]                 // 000000006518: D1000020 011241E1
	v_cndmask_b32_e64 v33, v225, v33, s[70:71]                 // 000000006520: D1000021 011A43E1
	v_cmp_lt_i32_e64 s[68:69], 2, v226                         // 000000006528: D0C10044 0003C482
	v_cmp_lt_i32_e64 s[70:71], 3, v226                         // 000000006530: D0C10046 0003C483
	v_cndmask_b32_e64 v34, v225, v34, s[68:69]                 // 000000006538: D1000022 011245E1
	v_cndmask_b32_e64 v35, v225, v35, s[70:71]                 // 000000006540: D1000023 011A47E1
	v_cmp_lt_i32_e64 s[68:69], 8, v226                         // 000000006548: D0C10044 0003C488
	v_cmp_lt_i32_e64 s[70:71], 9, v226                         // 000000006550: D0C10046 0003C489
	v_cndmask_b32_e64 v36, v225, v36, s[68:69]                 // 000000006558: D1000024 011249E1
	v_cndmask_b32_e64 v37, v225, v37, s[70:71]                 // 000000006560: D1000025 011A4BE1
	v_cmp_lt_i32_e64 s[68:69], 10, v226                        // 000000006568: D0C10044 0003C48A
	v_cmp_lt_i32_e64 s[70:71], 11, v226                        // 000000006570: D0C10046 0003C48B
	v_cndmask_b32_e64 v38, v225, v38, s[68:69]                 // 000000006578: D1000026 01124DE1
	v_cndmask_b32_e64 v39, v225, v39, s[70:71]                 // 000000006580: D1000027 011A4FE1
	v_cmp_lt_i32_e64 s[68:69], 16, v226                        // 000000006588: D0C10044 0003C490
	v_cmp_lt_i32_e64 s[70:71], 17, v226                        // 000000006590: D0C10046 0003C491
	v_cndmask_b32_e64 v40, v225, v40, s[68:69]                 // 000000006598: D1000028 011251E1
	v_cndmask_b32_e64 v41, v225, v41, s[70:71]                 // 0000000065A0: D1000029 011A53E1
	v_cmp_lt_i32_e64 s[68:69], 18, v226                        // 0000000065A8: D0C10044 0003C492
	v_cmp_lt_i32_e64 s[70:71], 19, v226                        // 0000000065B0: D0C10046 0003C493
	v_cndmask_b32_e64 v42, v225, v42, s[68:69]                 // 0000000065B8: D100002A 011255E1
	v_cndmask_b32_e64 v43, v225, v43, s[70:71]                 // 0000000065C0: D100002B 011A57E1
	v_cmp_lt_i32_e64 s[68:69], 24, v226                        // 0000000065C8: D0C10044 0003C498
	v_cmp_lt_i32_e64 s[70:71], 25, v226                        // 0000000065D0: D0C10046 0003C499
	v_cndmask_b32_e64 v44, v225, v44, s[68:69]                 // 0000000065D8: D100002C 011259E1
	v_cndmask_b32_e64 v45, v225, v45, s[70:71]                 // 0000000065E0: D100002D 011A5BE1
	v_cmp_lt_i32_e64 s[68:69], 26, v226                        // 0000000065E8: D0C10044 0003C49A
	v_cmp_lt_i32_e64 s[70:71], 27, v226                        // 0000000065F0: D0C10046 0003C49B
	v_cndmask_b32_e64 v46, v225, v46, s[68:69]                 // 0000000065F8: D100002E 01125DE1
	v_cndmask_b32_e64 v47, v225, v47, s[70:71]                 // 000000006600: D100002F 011A5FE1
	v_cmp_lt_i32_e64 s[68:69], 32, v226                        // 000000006608: D0C10044 0003C4A0
	v_cmp_lt_i32_e64 s[70:71], 33, v226                        // 000000006610: D0C10046 0003C4A1
	v_cndmask_b32_e64 v48, v225, v48, s[68:69]                 // 000000006618: D1000030 011261E1
	v_cndmask_b32_e64 v49, v225, v49, s[70:71]                 // 000000006620: D1000031 011A63E1
	v_cmp_lt_i32_e64 s[68:69], 34, v226                        // 000000006628: D0C10044 0003C4A2
	v_cmp_lt_i32_e64 s[70:71], 35, v226                        // 000000006630: D0C10046 0003C4A3
	v_cndmask_b32_e64 v50, v225, v50, s[68:69]                 // 000000006638: D1000032 011265E1
	v_cndmask_b32_e64 v51, v225, v51, s[70:71]                 // 000000006640: D1000033 011A67E1
	v_cmp_lt_i32_e64 s[68:69], 40, v226                        // 000000006648: D0C10044 0003C4A8
	v_cmp_lt_i32_e64 s[70:71], 41, v226                        // 000000006650: D0C10046 0003C4A9
	v_cndmask_b32_e64 v52, v225, v52, s[68:69]                 // 000000006658: D1000034 011269E1
	v_cndmask_b32_e64 v53, v225, v53, s[70:71]                 // 000000006660: D1000035 011A6BE1
	v_cmp_lt_i32_e64 s[68:69], 42, v226                        // 000000006668: D0C10044 0003C4AA
	v_cmp_lt_i32_e64 s[70:71], 43, v226                        // 000000006670: D0C10046 0003C4AB
	v_cndmask_b32_e64 v54, v225, v54, s[68:69]                 // 000000006678: D1000036 01126DE1
	v_cndmask_b32_e64 v55, v225, v55, s[70:71]                 // 000000006680: D1000037 011A6FE1
	v_cmp_lt_i32_e64 s[68:69], 48, v226                        // 000000006688: D0C10044 0003C4B0
	v_cmp_lt_i32_e64 s[70:71], 49, v226                        // 000000006690: D0C10046 0003C4B1
	v_cndmask_b32_e64 v56, v225, v56, s[68:69]                 // 000000006698: D1000038 011271E1
	v_cndmask_b32_e64 v57, v225, v57, s[70:71]                 // 0000000066A0: D1000039 011A73E1
	v_cmp_lt_i32_e64 s[68:69], 50, v226                        // 0000000066A8: D0C10044 0003C4B2
	v_cmp_lt_i32_e64 s[70:71], 51, v226                        // 0000000066B0: D0C10046 0003C4B3
	v_cndmask_b32_e64 v58, v225, v58, s[68:69]                 // 0000000066B8: D100003A 011275E1
	v_cndmask_b32_e64 v59, v225, v59, s[70:71]                 // 0000000066C0: D100003B 011A77E1
	v_cmp_lt_i32_e64 s[68:69], 56, v226                        // 0000000066C8: D0C10044 0003C4B8
	v_cmp_lt_i32_e64 s[70:71], 57, v226                        // 0000000066D0: D0C10046 0003C4B9
	v_cndmask_b32_e64 v60, v225, v60, s[68:69]                 // 0000000066D8: D100003C 011279E1
	v_cndmask_b32_e64 v61, v225, v61, s[70:71]                 // 0000000066E0: D100003D 011A7BE1
	v_cmp_lt_i32_e64 s[68:69], 58, v226                        // 0000000066E8: D0C10044 0003C4BA
	v_cmp_lt_i32_e64 s[70:71], 59, v226                        // 0000000066F0: D0C10046 0003C4BB
	v_cndmask_b32_e64 v62, v225, v62, s[68:69]                 // 0000000066F8: D100003E 01127DE1
	v_cndmask_b32_e64 v63, v225, v63, s[70:71]                 // 000000006700: D100003F 011A7FE1
	v_sub_i32 v226, v226, 64                                   // 000000006708: D29D00E2 000181E2
	v_cmp_lt_i32_e64 s[68:69], 0, v226                         // 000000006710: D0C10044 0003C480
	v_cmp_lt_i32_e64 s[70:71], 1, v226                         // 000000006718: D0C10046 0003C481
	v_cndmask_b32_e64 v64, v225, v64, s[68:69]                 // 000000006720: D1000040 011281E1
	v_cndmask_b32_e64 v65, v225, v65, s[70:71]                 // 000000006728: D1000041 011A83E1
	v_cmp_lt_i32_e64 s[68:69], 2, v226                         // 000000006730: D0C10044 0003C482
	v_cmp_lt_i32_e64 s[70:71], 3, v226                         // 000000006738: D0C10046 0003C483
	v_cndmask_b32_e64 v66, v225, v66, s[68:69]                 // 000000006740: D1000042 011285E1
	v_cndmask_b32_e64 v67, v225, v67, s[70:71]                 // 000000006748: D1000043 011A87E1
	v_cmp_lt_i32_e64 s[68:69], 8, v226                         // 000000006750: D0C10044 0003C488
	v_cmp_lt_i32_e64 s[70:71], 9, v226                         // 000000006758: D0C10046 0003C489
	v_cndmask_b32_e64 v68, v225, v68, s[68:69]                 // 000000006760: D1000044 011289E1
	v_cndmask_b32_e64 v69, v225, v69, s[70:71]                 // 000000006768: D1000045 011A8BE1
	v_cmp_lt_i32_e64 s[68:69], 10, v226                        // 000000006770: D0C10044 0003C48A
	v_cmp_lt_i32_e64 s[70:71], 11, v226                        // 000000006778: D0C10046 0003C48B
	v_cndmask_b32_e64 v70, v225, v70, s[68:69]                 // 000000006780: D1000046 01128DE1
	v_cndmask_b32_e64 v71, v225, v71, s[70:71]                 // 000000006788: D1000047 011A8FE1
	v_cmp_lt_i32_e64 s[68:69], 16, v226                        // 000000006790: D0C10044 0003C490
	v_cmp_lt_i32_e64 s[70:71], 17, v226                        // 000000006798: D0C10046 0003C491
	v_cndmask_b32_e64 v72, v225, v72, s[68:69]                 // 0000000067A0: D1000048 011291E1
	v_cndmask_b32_e64 v73, v225, v73, s[70:71]                 // 0000000067A8: D1000049 011A93E1
	v_cmp_lt_i32_e64 s[68:69], 18, v226                        // 0000000067B0: D0C10044 0003C492
	v_cmp_lt_i32_e64 s[70:71], 19, v226                        // 0000000067B8: D0C10046 0003C493
	v_cndmask_b32_e64 v74, v225, v74, s[68:69]                 // 0000000067C0: D100004A 011295E1
	v_cndmask_b32_e64 v75, v225, v75, s[70:71]                 // 0000000067C8: D100004B 011A97E1
	v_cmp_lt_i32_e64 s[68:69], 24, v226                        // 0000000067D0: D0C10044 0003C498
	v_cmp_lt_i32_e64 s[70:71], 25, v226                        // 0000000067D8: D0C10046 0003C499
	v_cndmask_b32_e64 v76, v225, v76, s[68:69]                 // 0000000067E0: D100004C 011299E1
	v_cndmask_b32_e64 v77, v225, v77, s[70:71]                 // 0000000067E8: D100004D 011A9BE1
	v_cmp_lt_i32_e64 s[68:69], 26, v226                        // 0000000067F0: D0C10044 0003C49A
	v_cmp_lt_i32_e64 s[70:71], 27, v226                        // 0000000067F8: D0C10046 0003C49B
	v_cndmask_b32_e64 v78, v225, v78, s[68:69]                 // 000000006800: D100004E 01129DE1
	v_cndmask_b32_e64 v79, v225, v79, s[70:71]                 // 000000006808: D100004F 011A9FE1
	v_cmp_lt_i32_e64 s[68:69], 32, v226                        // 000000006810: D0C10044 0003C4A0
	v_cmp_lt_i32_e64 s[70:71], 33, v226                        // 000000006818: D0C10046 0003C4A1
	v_cndmask_b32_e64 v80, v225, v80, s[68:69]                 // 000000006820: D1000050 0112A1E1
	v_cndmask_b32_e64 v81, v225, v81, s[70:71]                 // 000000006828: D1000051 011AA3E1
	v_cmp_lt_i32_e64 s[68:69], 34, v226                        // 000000006830: D0C10044 0003C4A2
	v_cmp_lt_i32_e64 s[70:71], 35, v226                        // 000000006838: D0C10046 0003C4A3
	v_cndmask_b32_e64 v82, v225, v82, s[68:69]                 // 000000006840: D1000052 0112A5E1
	v_cndmask_b32_e64 v83, v225, v83, s[70:71]                 // 000000006848: D1000053 011AA7E1
	v_cmp_lt_i32_e64 s[68:69], 40, v226                        // 000000006850: D0C10044 0003C4A8
	v_cmp_lt_i32_e64 s[70:71], 41, v226                        // 000000006858: D0C10046 0003C4A9
	v_cndmask_b32_e64 v84, v225, v84, s[68:69]                 // 000000006860: D1000054 0112A9E1
	v_cndmask_b32_e64 v85, v225, v85, s[70:71]                 // 000000006868: D1000055 011AABE1
	v_cmp_lt_i32_e64 s[68:69], 42, v226                        // 000000006870: D0C10044 0003C4AA
	v_cmp_lt_i32_e64 s[70:71], 43, v226                        // 000000006878: D0C10046 0003C4AB
	v_cndmask_b32_e64 v86, v225, v86, s[68:69]                 // 000000006880: D1000056 0112ADE1
	v_cndmask_b32_e64 v87, v225, v87, s[70:71]                 // 000000006888: D1000057 011AAFE1
	v_cmp_lt_i32_e64 s[68:69], 48, v226                        // 000000006890: D0C10044 0003C4B0
	v_cmp_lt_i32_e64 s[70:71], 49, v226                        // 000000006898: D0C10046 0003C4B1
	v_cndmask_b32_e64 v88, v225, v88, s[68:69]                 // 0000000068A0: D1000058 0112B1E1
	v_cndmask_b32_e64 v89, v225, v89, s[70:71]                 // 0000000068A8: D1000059 011AB3E1
	v_cmp_lt_i32_e64 s[68:69], 50, v226                        // 0000000068B0: D0C10044 0003C4B2
	v_cmp_lt_i32_e64 s[70:71], 51, v226                        // 0000000068B8: D0C10046 0003C4B3
	v_cndmask_b32_e64 v90, v225, v90, s[68:69]                 // 0000000068C0: D100005A 0112B5E1
	v_cndmask_b32_e64 v91, v225, v91, s[70:71]                 // 0000000068C8: D100005B 011AB7E1
	v_cmp_lt_i32_e64 s[68:69], 56, v226                        // 0000000068D0: D0C10044 0003C4B8
	v_cmp_lt_i32_e64 s[70:71], 57, v226                        // 0000000068D8: D0C10046 0003C4B9
	v_cndmask_b32_e64 v92, v225, v92, s[68:69]                 // 0000000068E0: D100005C 0112B9E1
	v_cndmask_b32_e64 v93, v225, v93, s[70:71]                 // 0000000068E8: D100005D 011ABBE1
	v_cmp_lt_i32_e64 s[68:69], 58, v226                        // 0000000068F0: D0C10044 0003C4BA
	v_cmp_lt_i32_e64 s[70:71], 59, v226                        // 0000000068F8: D0C10046 0003C4BB
	v_cndmask_b32_e64 v94, v225, v94, s[68:69]                 // 000000006900: D100005E 0112BDE1
	v_cndmask_b32_e64 v95, v225, v95, s[70:71]                 // 000000006908: D100005F 011ABFE1

0000000000006910 <label_0D84>:
	s_waitcnt vmcnt(12) lgkmcnt(0)                             // 000000006910: BF8C007C
	s_barrier                                                  // 000000006914: BF8A0000
	s_mov_b32 m0, s35                                          // 000000006918: BEFC0023
	v_mfma_f32_32x32x16_bf16 v[160:175], a[48:51], v[96:99], v[160:175]// 00000000691C: D3B700A0 0E82C130
	buffer_load_dwordx4 v19, s[16:19], s57 offen lds           // 000000006924: E05D1000 39040013
	v_mov_b32_e32 v237, v233                                   // 00000000692C: 7FDA03E9
	v_max3_f32 v237, v32, v33, v237                            // 000000006930: D1D300ED 07B64320
	v_max3_f32 v237, v34, v35, v237                            // 000000006938: D1D300ED 07B64722
	v_max3_f32 v237, v36, v37, v237                            // 000000006940: D1D300ED 07B64B24
	v_mfma_f32_32x32x16_bf16 v[160:175], a[52:55], v[100:103], v[160:175]// 000000006948: D3B700A0 0E82C934
	ds_read_b64_tr_b16 a[144:145], v30 offset:17408            // 000000006950: DBC64400 9000001E
	ds_read_b64_tr_b16 a[146:147], v30 offset:17920            // 000000006958: DBC64600 9200001E
	ds_read_b64_tr_b16 a[148:149], v30 offset:19584            // 000000006960: DBC64C80 9400001E
	ds_read_b64_tr_b16 a[150:151], v30 offset:20096            // 000000006968: DBC64E80 9600001E
	v_max3_f32 v237, v38, v39, v237                            // 000000006970: D1D300ED 07B64F26
	v_max3_f32 v237, v40, v41, v237                            // 000000006978: D1D300ED 07B65328
	v_mfma_f32_32x32x16_bf16 v[160:175], a[56:59], v[104:107], v[160:175]// 000000006980: D3B700A0 0E82D138
	s_add_u32 m0, 0x1100, m0                                   // 000000006988: 807C7CFF 00001100
	buffer_load_dwordx4 v20, s[16:19], s57 offen lds           // 000000006990: E05D1000 39040014
	s_add_u32 m0, 0x1100, m0                                   // 000000006998: 807C7CFF 00001100
	v_max3_f32 v237, v42, v43, v237                            // 0000000069A0: D1D300ED 07B6572A
	v_max3_f32 v237, v44, v45, v237                            // 0000000069A8: D1D300ED 07B65B2C
	v_mfma_f32_32x32x16_bf16 v[160:175], a[60:63], v[108:111], v[160:175]// 0000000069B0: D3B700A0 0E82D93C
	ds_read_b64_tr_b16 a[152:153], v30 offset:21760            // 0000000069B8: DBC65500 9800001E
	ds_read_b64_tr_b16 a[154:155], v30 offset:22272            // 0000000069C0: DBC65700 9A00001E
	ds_read_b64_tr_b16 a[156:157], v30 offset:23936            // 0000000069C8: DBC65D80 9C00001E
	ds_read_b64_tr_b16 a[158:159], v30 offset:24448            // 0000000069D0: DBC65F80 9E00001E
	v_max3_f32 v237, v46, v47, v237                            // 0000000069D8: D1D300ED 07B65F2E
	v_max3_f32 v237, v48, v49, v237                            // 0000000069E0: D1D300ED 07B66330
	v_mfma_f32_32x32x16_bf16 v[176:191], a[64:67], v[96:99], v[176:191]// 0000000069E8: D3B700B0 0EC2C140
	buffer_load_dwordx4 v21, s[16:19], s57 offen lds           // 0000000069F0: E05D1000 39040015
	v_max3_f32 v237, v50, v51, v237                            // 0000000069F8: D1D300ED 07B66732
	v_max3_f32 v237, v52, v53, v237                            // 000000006A00: D1D300ED 07B66B34
	v_max3_f32 v237, v54, v55, v237                            // 000000006A08: D1D300ED 07B66F36
	v_max3_f32 v237, v56, v57, v237                            // 000000006A10: D1D300ED 07B67338
	v_mfma_f32_32x32x16_bf16 v[176:191], a[68:71], v[100:103], v[176:191]// 000000006A18: D3B700B0 0EC2C944
	ds_read_b64_tr_b16 a[160:161], v30 offset:17472            // 000000006A20: DBC64440 A000001E
	ds_read_b64_tr_b16 a[162:163], v30 offset:17984            // 000000006A28: DBC64640 A200001E
	ds_read_b64_tr_b16 a[164:165], v30 offset:19648            // 000000006A30: DBC64CC0 A400001E
	ds_read_b64_tr_b16 a[166:167], v30 offset:20160            // 000000006A38: DBC64EC0 A600001E
	v_max3_f32 v237, v58, v59, v237                            // 000000006A40: D1D300ED 07B6773A
	v_max3_f32 v237, v60, v61, v237                            // 000000006A48: D1D300ED 07B67B3C
	v_mfma_f32_32x32x16_bf16 v[176:191], a[72:75], v[104:107], v[176:191]// 000000006A50: D3B700B0 0EC2D148
	s_add_u32 m0, 0x1100, m0                                   // 000000006A58: 807C7CFF 00001100
	buffer_load_dwordx4 v22, s[16:19], s57 offen lds           // 000000006A60: E05D1000 39040016
	s_add_u32 m0, 0x1100, m0                                   // 000000006A68: 807C7CFF 00001100
	v_max3_f32 v237, v62, v63, v237                            // 000000006A70: D1D300ED 07B67F3E
	v_max3_f32 v237, v64, v65, v237                            // 000000006A78: D1D300ED 07B68340
	v_mfma_f32_32x32x16_bf16 v[176:191], a[76:79], v[108:111], v[176:191]// 000000006A80: D3B700B0 0EC2D94C
	ds_read_b64_tr_b16 a[168:169], v30 offset:21824            // 000000006A88: DBC65540 A800001E
	ds_read_b64_tr_b16 a[170:171], v30 offset:22336            // 000000006A90: DBC65740 AA00001E
	ds_read_b64_tr_b16 a[172:173], v30 offset:24000            // 000000006A98: DBC65DC0 AC00001E
	ds_read_b64_tr_b16 a[174:175], v30 offset:24512            // 000000006AA0: DBC65FC0 AE00001E
	v_max3_f32 v237, v66, v67, v237                            // 000000006AA8: D1D300ED 07B68742
	v_max3_f32 v237, v68, v69, v237                            // 000000006AB0: D1D300ED 07B68B44
	v_mfma_f32_32x32x16_bf16 v[192:207], a[80:83], v[96:99], v[192:207]// 000000006AB8: D3B700C0 0F02C150
	v_max3_f32 v237, v70, v71, v237                            // 000000006AC0: D1D300ED 07B68F46
	v_max3_f32 v237, v72, v73, v237                            // 000000006AC8: D1D300ED 07B69348
	v_max3_f32 v237, v74, v75, v237                            // 000000006AD0: D1D300ED 07B6974A
	v_max3_f32 v237, v76, v77, v237                            // 000000006AD8: D1D300ED 07B69B4C
	v_max3_f32 v237, v78, v79, v237                            // 000000006AE0: D1D300ED 07B69F4E
	v_max3_f32 v237, v80, v81, v237                            // 000000006AE8: D1D300ED 07B6A350
	v_mfma_f32_32x32x16_bf16 v[192:207], a[84:87], v[100:103], v[192:207]// 000000006AF0: D3B700C0 0F02C954
	ds_read_b64_tr_b16 a[176:177], v31 offset:17408            // 000000006AF8: DBC64400 B000001F
	ds_read_b64_tr_b16 a[178:179], v31 offset:17920            // 000000006B00: DBC64600 B200001F
	ds_read_b64_tr_b16 a[180:181], v31 offset:19584            // 000000006B08: DBC64C80 B400001F
	ds_read_b64_tr_b16 a[182:183], v31 offset:20096            // 000000006B10: DBC64E80 B600001F
	v_max3_f32 v237, v82, v83, v237                            // 000000006B18: D1D300ED 07B6A752
	v_max3_f32 v237, v84, v85, v237                            // 000000006B20: D1D300ED 07B6AB54
	v_mfma_f32_32x32x16_bf16 v[192:207], a[88:91], v[104:107], v[192:207]// 000000006B28: D3B700C0 0F02D158
	v_max3_f32 v237, v86, v87, v237                            // 000000006B30: D1D300ED 07B6AF56
	v_max3_f32 v237, v88, v89, v237                            // 000000006B38: D1D300ED 07B6B358
	v_max3_f32 v237, v90, v91, v237                            // 000000006B40: D1D300ED 07B6B75A
	v_max3_f32 v237, v92, v93, v237                            // 000000006B48: D1D300ED 07B6BB5C
	v_max3_f32 v237, v94, v95, v237                            // 000000006B50: D1D300ED 07B6BF5E
	v_mov_b32_e32 v238, v237                                   // 000000006B58: 7FDC03ED
	v_mfma_f32_32x32x16_bf16 v[192:207], a[92:95], v[108:111], v[192:207]// 000000006B5C: D3B700C0 0F02D95C
	ds_read_b64_tr_b16 a[184:185], v31 offset:21760            // 000000006B64: DBC65500 B800001F
	ds_read_b64_tr_b16 a[186:187], v31 offset:22272            // 000000006B6C: DBC65700 BA00001F
	ds_read_b64_tr_b16 a[188:189], v31 offset:23936            // 000000006B74: DBC65D80 BC00001F
	ds_read_b64_tr_b16 a[190:191], v31 offset:24448            // 000000006B7C: DBC65F80 BE00001F
	v_nop                                                      // 000000006B84: 7E000000
	v_nop                                                      // 000000006B88: 7E000000
	v_mfma_f32_32x32x16_bf16 v[208:223], a[96:99], v[96:99], v[208:223]// 000000006B8C: D3B700D0 0F42C160
	v_permlane32_swap_b32_e32 v238, v237                       // 000000006B94: 7FDCB5ED
	v_max_f32_e32 v237, v238, v237                             // 000000006B98: 17DBDBEE
	v_sub_f32_e32 v230, v233, v237                             // 000000006B9C: 05CDDBE9
	v_mov_b32_e32 v233, v237                                   // 000000006BA0: 7FD203ED
	v_mul_f32_e32 v236, s32, v237                              // 000000006BA4: 0BD9DA20
	v_mfma_f32_32x32x16_bf16 v[208:223], a[100:103], v[100:103], v[208:223]// 000000006BA8: D3B700D0 0F42C964
	ds_read_b64_tr_b16 a[192:193], v31 offset:17472            // 000000006BB0: DBC64440 C000001F
	ds_read_b64_tr_b16 a[194:195], v31 offset:17984            // 000000006BB8: DBC64640 C200001F
	ds_read_b64_tr_b16 a[196:197], v31 offset:19648            // 000000006BC0: DBC64CC0 C400001F
	ds_read_b64_tr_b16 a[198:199], v31 offset:20160            // 000000006BC8: DBC64EC0 C600001F
	v_mul_f32_e32 v230, s32, v230                              // 000000006BD0: 0BCDCC20
	v_mfma_f32_32x32x16_bf16 v[208:223], a[104:107], v[104:107], v[208:223]// 000000006BD4: D3B700D0 0F42D168
	v_exp_f32_e32 v230, v230                                   // 000000006BDC: 7FCC41E6
	v_fma_f32 v32, v32, s32, -v236                             // 000000006BE0: D1CB0020 87B04120
	v_fma_f32 v33, v33, s32, -v236                             // 000000006BE8: D1CB0021 87B04121
	v_fma_f32 v34, v34, s32, -v236                             // 000000006BF0: D1CB0022 87B04122
	v_fma_f32 v35, v35, s32, -v236                             // 000000006BF8: D1CB0023 87B04123
	v_mfma_f32_32x32x16_bf16 v[208:223], a[108:111], v[108:111], v[208:223]// 000000006C00: D3B700D0 0F42D96C
	ds_read_b64_tr_b16 a[200:201], v31 offset:21824            // 000000006C08: DBC65540 C800001F
	ds_read_b64_tr_b16 a[202:203], v31 offset:22336            // 000000006C10: DBC65740 CA00001F
	ds_read_b64_tr_b16 a[204:205], v31 offset:24000            // 000000006C18: DBC65DC0 CC00001F
	ds_read_b64_tr_b16 a[206:207], v31 offset:24512            // 000000006C20: DBC65FC0 CE00001F
	v_fma_f32 v36, v36, s32, -v236                             // 000000006C28: D1CB0024 87B04124
	v_fma_f32 v37, v37, s32, -v236                             // 000000006C30: D1CB0025 87B04125
	s_waitcnt vmcnt(10) lgkmcnt(8)                             // 000000006C38: BF8C087A
	s_barrier                                                  // 000000006C3C: BF8A0000
	s_mov_b32 m0, s36                                          // 000000006C40: BEFC0024
	v_mfma_f32_32x32x16_bf16 v[160:175], a[144:147], v[112:115], v[160:175]// 000000006C44: D3B700A0 0E82E190
	buffer_load_dwordx4 v23, s[16:19], s57 offen lds           // 000000006C4C: E05D1000 39040017
	v_fma_f32 v38, v38, s32, -v236                             // 000000006C54: D1CB0026 87B04126
	v_fma_f32 v39, v39, s32, -v236                             // 000000006C5C: D1CB0027 87B04127
	v_fma_f32 v40, v40, s32, -v236                             // 000000006C64: D1CB0028 87B04128
	v_fma_f32 v41, v41, s32, -v236                             // 000000006C6C: D1CB0029 87B04129
	v_mfma_f32_32x32x16_bf16 v[160:175], a[148:151], v[116:119], v[160:175]// 000000006C74: D3B700A0 0E82E994
	ds_read_b128 a[48:51], v27                                 // 000000006C7C: DBFE0000 3000001B
	ds_read_b128 a[52:55], v27 offset:32                       // 000000006C84: DBFE0020 3400001B
	ds_read_b128 a[56:59], v27 offset:64                       // 000000006C8C: DBFE0040 3800001B
	ds_read_b128 a[60:63], v27 offset:96                       // 000000006C94: DBFE0060 3C00001B
	v_fma_f32 v42, v42, s32, -v236                             // 000000006C9C: D1CB002A 87B0412A
	v_fma_f32 v43, v43, s32, -v236                             // 000000006CA4: D1CB002B 87B0412B
	v_mfma_f32_32x32x16_bf16 v[160:175], a[152:155], v[120:123], v[160:175]// 000000006CAC: D3B700A0 0E82F198
	s_add_u32 m0, 0x1100, m0                                   // 000000006CB4: 807C7CFF 00001100
	buffer_load_dwordx4 v24, s[16:19], s57 offen lds           // 000000006CBC: E05D1000 39040018
	s_add_u32 m0, 0x1100, m0                                   // 000000006CC4: 807C7CFF 00001100
	v_fma_f32 v44, v44, s32, -v236                             // 000000006CCC: D1CB002C 87B0412C
	v_fma_f32 v45, v45, s32, -v236                             // 000000006CD4: D1CB002D 87B0412D
	s_waitcnt lgkmcnt(4)                                       // 000000006CDC: BF8CC47F
	s_nop 0                                                    // 000000006CE0: BF800000
	v_mfma_f32_32x32x16_bf16 v[160:175], a[156:159], v[124:127], v[160:175]// 000000006CE4: D3B700A0 0E82F99C
	ds_read_b128 a[64:67], v28                                 // 000000006CEC: DBFE0000 4000001C
	ds_read_b128 a[68:71], v28 offset:32                       // 000000006CF4: DBFE0020 4400001C
	ds_read_b128 a[72:75], v28 offset:64                       // 000000006CFC: DBFE0040 4800001C
	ds_read_b128 a[76:79], v28 offset:96                       // 000000006D04: DBFE0060 4C00001C
	v_fma_f32 v46, v46, s32, -v236                             // 000000006D0C: D1CB002E 87B0412E
	v_fma_f32 v47, v47, s32, -v236                             // 000000006D14: D1CB002F 87B0412F
	v_mfma_f32_32x32x16_bf16 v[176:191], a[160:163], v[112:115], v[176:191]// 000000006D1C: D3B700B0 0EC2E1A0
	buffer_load_dwordx4 v25, s[16:19], s57 offen lds           // 000000006D24: E05D1000 39040019
	v_fma_f32 v48, v48, s32, -v236                             // 000000006D2C: D1CB0030 87B04130
	v_fma_f32 v49, v49, s32, -v236                             // 000000006D34: D1CB0031 87B04131
	v_fma_f32 v50, v50, s32, -v236                             // 000000006D3C: D1CB0032 87B04132
	v_fma_f32 v51, v51, s32, -v236                             // 000000006D44: D1CB0033 87B04133
	v_mfma_f32_32x32x16_bf16 v[176:191], a[164:167], v[116:119], v[176:191]// 000000006D4C: D3B700B0 0EC2E9A4
	ds_read_b128 a[80:83], v29                                 // 000000006D54: DBFE0000 5000001D
	ds_read_b128 a[84:87], v29 offset:32                       // 000000006D5C: DBFE0020 5400001D
	ds_read_b128 a[88:91], v29 offset:64                       // 000000006D64: DBFE0040 5800001D
	ds_read_b128 a[92:95], v29 offset:96                       // 000000006D6C: DBFE0060 5C00001D
	v_fma_f32 v52, v52, s32, -v236                             // 000000006D74: D1CB0034 87B04134
	v_fma_f32 v53, v53, s32, -v236                             // 000000006D7C: D1CB0035 87B04135
	v_mfma_f32_32x32x16_bf16 v[176:191], a[168:171], v[120:123], v[176:191]// 000000006D84: D3B700B0 0EC2F1A8
	s_add_u32 m0, 0x1100, m0                                   // 000000006D8C: 807C7CFF 00001100
	buffer_load_dwordx4 v26, s[16:19], s57 offen lds           // 000000006D94: E05D1000 3904001A
	s_add_u32 m0, 0x1100, m0                                   // 000000006D9C: 807C7CFF 00001100
	v_fma_f32 v54, v54, s32, -v236                             // 000000006DA4: D1CB0036 87B04136
	v_fma_f32 v55, v55, s32, -v236                             // 000000006DAC: D1CB0037 87B04137
	v_mfma_f32_32x32x16_bf16 v[176:191], a[172:175], v[124:127], v[176:191]// 000000006DB4: D3B700B0 0EC2F9AC
	ds_read_b128 a[96:99], v27 offset:512                      // 000000006DBC: DBFE0200 6000001B
	ds_read_b128 a[100:103], v27 offset:544                    // 000000006DC4: DBFE0220 6400001B
	ds_read_b128 a[104:107], v27 offset:576                    // 000000006DCC: DBFE0240 6800001B
	ds_read_b128 a[108:111], v27 offset:608                    // 000000006DD4: DBFE0260 6C00001B
	v_fma_f32 v56, v56, s32, -v236                             // 000000006DDC: D1CB0038 87B04138
	v_fma_f32 v57, v57, s32, -v236                             // 000000006DE4: D1CB0039 87B04139
	v_mfma_f32_32x32x16_bf16 v[192:207], a[176:179], v[112:115], v[192:207]// 000000006DEC: D3B700C0 0F02E1B0
	v_fma_f32 v58, v58, s32, -v236                             // 000000006DF4: D1CB003A 87B0413A
	v_fma_f32 v59, v59, s32, -v236                             // 000000006DFC: D1CB003B 87B0413B
	v_fma_f32 v60, v60, s32, -v236                             // 000000006E04: D1CB003C 87B0413C
	v_fma_f32 v61, v61, s32, -v236                             // 000000006E0C: D1CB003D 87B0413D
	v_fma_f32 v62, v62, s32, -v236                             // 000000006E14: D1CB003E 87B0413E
	v_fma_f32 v63, v63, s32, -v236                             // 000000006E1C: D1CB003F 87B0413F
	v_mfma_f32_32x32x16_bf16 v[192:207], a[180:183], v[116:119], v[192:207]// 000000006E24: D3B700C0 0F02E9B4
	ds_read_b128 a[112:115], v28 offset:512                    // 000000006E2C: DBFE0200 7000001C
	ds_read_b128 a[116:119], v28 offset:544                    // 000000006E34: DBFE0220 7400001C
	ds_read_b128 a[120:123], v28 offset:576                    // 000000006E3C: DBFE0240 7800001C
	ds_read_b128 a[124:127], v28 offset:608                    // 000000006E44: DBFE0260 7C00001C
	v_fma_f32 v64, v64, s32, -v236                             // 000000006E4C: D1CB0040 87B04140
	v_fma_f32 v65, v65, s32, -v236                             // 000000006E54: D1CB0041 87B04141
	v_mfma_f32_32x32x16_bf16 v[192:207], a[184:187], v[120:123], v[192:207]// 000000006E5C: D3B700C0 0F02F1B8
	v_fma_f32 v66, v66, s32, -v236                             // 000000006E64: D1CB0042 87B04142
	v_fma_f32 v67, v67, s32, -v236                             // 000000006E6C: D1CB0043 87B04143
	v_fma_f32 v68, v68, s32, -v236                             // 000000006E74: D1CB0044 87B04144
	v_fma_f32 v69, v69, s32, -v236                             // 000000006E7C: D1CB0045 87B04145
	v_fma_f32 v70, v70, s32, -v236                             // 000000006E84: D1CB0046 87B04146
	v_fma_f32 v71, v71, s32, -v236                             // 000000006E8C: D1CB0047 87B04147
	v_mfma_f32_32x32x16_bf16 v[192:207], a[188:191], v[124:127], v[192:207]// 000000006E94: D3B700C0 0F02F9BC
	ds_read_b128 a[128:131], v29 offset:512                    // 000000006E9C: DBFE0200 8000001D
	ds_read_b128 a[132:135], v29 offset:544                    // 000000006EA4: DBFE0220 8400001D
	ds_read_b128 a[136:139], v29 offset:576                    // 000000006EAC: DBFE0240 8800001D
	ds_read_b128 a[140:143], v29 offset:608                    // 000000006EB4: DBFE0260 8C00001D
	v_fma_f32 v72, v72, s32, -v236                             // 000000006EBC: D1CB0048 87B04148
	v_fma_f32 v73, v73, s32, -v236                             // 000000006EC4: D1CB0049 87B04149
	v_mfma_f32_32x32x16_bf16 v[208:223], a[192:195], v[112:115], v[208:223]// 000000006ECC: D3B700D0 0F42E1C0
	v_fma_f32 v74, v74, s32, -v236                             // 000000006ED4: D1CB004A 87B0414A
	v_fma_f32 v75, v75, s32, -v236                             // 000000006EDC: D1CB004B 87B0414B
	v_fma_f32 v76, v76, s32, -v236                             // 000000006EE4: D1CB004C 87B0414C
	v_fma_f32 v77, v77, s32, -v236                             // 000000006EEC: D1CB004D 87B0414D
	v_fma_f32 v78, v78, s32, -v236                             // 000000006EF4: D1CB004E 87B0414E
	v_fma_f32 v79, v79, s32, -v236                             // 000000006EFC: D1CB004F 87B0414F
	v_mfma_f32_32x32x16_bf16 v[208:223], a[196:199], v[116:119], v[208:223]// 000000006F04: D3B700D0 0F42E9C4
	v_fma_f32 v80, v80, s32, -v236                             // 000000006F0C: D1CB0050 87B04150
	v_fma_f32 v81, v81, s32, -v236                             // 000000006F14: D1CB0051 87B04151
	v_fma_f32 v82, v82, s32, -v236                             // 000000006F1C: D1CB0052 87B04152
	v_fma_f32 v83, v83, s32, -v236                             // 000000006F24: D1CB0053 87B04153
	v_fma_f32 v84, v84, s32, -v236                             // 000000006F2C: D1CB0054 87B04154
	v_fma_f32 v85, v85, s32, -v236                             // 000000006F34: D1CB0055 87B04155
	v_mfma_f32_32x32x16_bf16 v[208:223], a[200:203], v[120:123], v[208:223]// 000000006F3C: D3B700D0 0F42F1C8
	v_fma_f32 v86, v86, s32, -v236                             // 000000006F44: D1CB0056 87B04156
	v_fma_f32 v87, v87, s32, -v236                             // 000000006F4C: D1CB0057 87B04157
	v_fma_f32 v88, v88, s32, -v236                             // 000000006F54: D1CB0058 87B04158
	v_fma_f32 v89, v89, s32, -v236                             // 000000006F5C: D1CB0059 87B04159
	v_fma_f32 v90, v90, s32, -v236                             // 000000006F64: D1CB005A 87B0415A
	v_fma_f32 v91, v91, s32, -v236                             // 000000006F6C: D1CB005B 87B0415B
	s_add_i32 s57, s59, s57                                    // 000000006F74: 8139393B
	v_fma_f32 v92, v92, s32, -v236                             // 000000006F78: D1CB005C 87B0415C
	v_fma_f32 v93, v93, s32, -v236                             // 000000006F80: D1CB005D 87B0415D
	v_fma_f32 v94, v94, s32, -v236                             // 000000006F88: D1CB005E 87B0415E
	v_fma_f32 v95, v95, s32, -v236                             // 000000006F90: D1CB005F 87B0415F
	v_exp_f32_e32 v32, v32                                     // 000000006F98: 7E404120
	s_addk_i32 s61, 0x80                                       // 000000006F9C: B73D0080
	s_add_i32 s62, s62, s63                                    // 000000006FA0: 813E3F3E
	s_cmp_lt_i32 s61, s60                                      // 000000006FA4: BF043C3D
	v_mfma_f32_32x32x16_bf16 v[208:223], a[204:207], v[124:127], v[208:223]// 000000006FA8: D3B700D0 0F42F9CC
	s_cbranch_scc0 label_18B2                                  // 000000006FB0: BF840985
	s_branch label_05AA                                        // 000000006FB4: BF82F67C

0000000000006fb8 <label_0F2E>:
	s_waitcnt vmcnt(8) lgkmcnt(0)                              // 000000006FB8: BF8C0078
	s_barrier                                                  // 000000006FBC: BF8A0000
	s_mov_b32 m0, s33                                          // 000000006FC0: BEFC0021
	v_mfma_f32_32x32x16_bf16 v[96:111], a[48:51], a[0:3], 0    // 000000006FC4: D3B70060 1A020130
	ds_read_b128 a[144:147], v27 offset:24960                  // 000000006FCC: DBFE6180 9000001B
	ds_read_b128 a[148:151], v27 offset:24992                  // 000000006FD4: DBFE61A0 9400001B
	ds_read_b128 a[152:155], v27 offset:25024                  // 000000006FDC: DBFE61C0 9800001B
	ds_read_b128 a[156:159], v27 offset:25056                  // 000000006FE4: DBFE61E0 9C00001B
	v_exp_f32_e32 v33, v33                                     // 000000006FEC: 7E424121
	v_mfma_f32_32x32x16_bf16 v[96:111], a[52:55], a[4:7], v[96:111]// 000000006FF0: D3B70060 1D820934
	buffer_load_dwordx4 v7, s[12:15], s56 offen lds            // 000000006FF8: E05D1000 38030007
	v_exp_f32_e32 v34, v34                                     // 000000007000: 7E444122
	v_exp_f32_e32 v35, v35                                     // 000000007004: 7E464123
	v_mfma_f32_32x32x16_bf16 v[96:111], a[56:59], a[8:11], v[96:111]// 000000007008: D3B70060 1D821138
	ds_read_b128 a[160:163], v28 offset:24960                  // 000000007010: DBFE6180 A000001C
	ds_read_b128 a[164:167], v28 offset:24992                  // 000000007018: DBFE61A0 A400001C
	ds_read_b128 a[168:171], v28 offset:25024                  // 000000007020: DBFE61C0 A800001C
	ds_read_b128 a[172:175], v28 offset:25056                  // 000000007028: DBFE61E0 AC00001C
	v_exp_f32_e32 v36, v36                                     // 000000007030: 7E484124
	v_mfma_f32_32x32x16_bf16 v[96:111], a[60:63], a[12:15], v[96:111]// 000000007034: D3B70060 1D82193C
	s_add_u32 m0, 0x1040, m0                                   // 00000000703C: 807C7CFF 00001040
	buffer_load_dwordx4 v8, s[12:15], s56 offen lds            // 000000007044: E05D1000 38030008
	s_add_u32 m0, 0x1040, m0                                   // 00000000704C: 807C7CFF 00001040
	v_exp_f32_e32 v37, v37                                     // 000000007054: 7E4A4125
	v_mfma_f32_32x32x16_bf16 v[96:111], a[64:67], a[16:19], v[96:111]// 000000007058: D3B70060 1D822140
	ds_read_b128 a[176:179], v29 offset:24960                  // 000000007060: DBFE6180 B000001D
	ds_read_b128 a[180:183], v29 offset:24992                  // 000000007068: DBFE61A0 B400001D
	ds_read_b128 a[184:187], v29 offset:25024                  // 000000007070: DBFE61C0 B800001D
	ds_read_b128 a[188:191], v29 offset:25056                  // 000000007078: DBFE61E0 BC00001D
	v_exp_f32_e32 v38, v38                                     // 000000007080: 7E4C4126
	v_mfma_f32_32x32x16_bf16 v[96:111], a[68:71], a[20:23], v[96:111]// 000000007084: D3B70060 1D822944
	buffer_load_dwordx4 v9, s[12:15], s56 offen lds            // 00000000708C: E05D1000 38030009
	v_exp_f32_e32 v39, v39                                     // 000000007094: 7E4E4127
	v_exp_f32_e32 v40, v40                                     // 000000007098: 7E504128
	v_mfma_f32_32x32x16_bf16 v[96:111], a[72:75], a[24:27], v[96:111]// 00000000709C: D3B70060 1D823148
	ds_read_b128 a[192:195], v27 offset:25472                  // 0000000070A4: DBFE6380 C000001B
	ds_read_b128 a[196:199], v27 offset:25504                  // 0000000070AC: DBFE63A0 C400001B
	ds_read_b128 a[200:203], v27 offset:25536                  // 0000000070B4: DBFE63C0 C800001B
	ds_read_b128 a[204:207], v27 offset:25568                  // 0000000070BC: DBFE63E0 CC00001B
	v_exp_f32_e32 v41, v41                                     // 0000000070C4: 7E524129
	v_mfma_f32_32x32x16_bf16 v[96:111], a[76:79], a[28:31], v[96:111]// 0000000070C8: D3B70060 1D82394C
	s_add_u32 m0, 0x1040, m0                                   // 0000000070D0: 807C7CFF 00001040
	buffer_load_dwordx4 v10, s[12:15], s56 offen lds           // 0000000070D8: E05D1000 3803000A
	s_add_u32 m0, 0x1040, m0                                   // 0000000070E0: 807C7CFF 00001040
	v_exp_f32_e32 v42, v42                                     // 0000000070E8: 7E54412A
	v_mfma_f32_32x32x16_bf16 v[96:111], a[80:83], a[32:35], v[96:111]// 0000000070EC: D3B70060 1D824150
	ds_read_b128 a[208:211], v28 offset:25472                  // 0000000070F4: DBFE6380 D000001C
	ds_read_b128 a[212:215], v28 offset:25504                  // 0000000070FC: DBFE63A0 D400001C
	ds_read_b128 a[216:219], v28 offset:25536                  // 000000007104: DBFE63C0 D800001C
	ds_read_b128 a[220:223], v28 offset:25568                  // 00000000710C: DBFE63E0 DC00001C
	v_exp_f32_e32 v43, v43                                     // 000000007114: 7E56412B
	v_mfma_f32_32x32x16_bf16 v[96:111], a[84:87], a[36:39], v[96:111]// 000000007118: D3B70060 1D824954
	buffer_load_dwordx4 v11, s[12:15], s56 offen lds           // 000000007120: E05D1000 3803000B
	v_exp_f32_e32 v44, v44                                     // 000000007128: 7E58412C
	v_exp_f32_e32 v45, v45                                     // 00000000712C: 7E5A412D
	v_mfma_f32_32x32x16_bf16 v[96:111], a[88:91], a[40:43], v[96:111]// 000000007130: D3B70060 1D825158
	ds_read_b128 a[224:227], v29 offset:25472                  // 000000007138: DBFE6380 E000001D
	ds_read_b128 a[228:231], v29 offset:25504                  // 000000007140: DBFE63A0 E400001D
	ds_read_b128 a[232:235], v29 offset:25536                  // 000000007148: DBFE63C0 E800001D
	ds_read_b128 a[236:239], v29 offset:25568                  // 000000007150: DBFE63E0 EC00001D
	v_exp_f32_e32 v46, v46                                     // 000000007158: 7E5C412E
	v_mfma_f32_32x32x16_bf16 v[96:111], a[92:95], a[44:47], v[96:111]// 00000000715C: D3B70060 1D82595C
	s_add_u32 m0, 0x1040, m0                                   // 000000007164: 807C7CFF 00001040
	buffer_load_dwordx4 v12, s[12:15], s56 offen lds           // 00000000716C: E05D1000 3803000C
	s_add_u32 m0, 0x1040, m0                                   // 000000007174: 807C7CFF 00001040
	v_exp_f32_e32 v47, v47                                     // 00000000717C: 7E5E412F
	v_mfma_f32_32x32x16_bf16 v[112:127], a[96:99], a[0:3], 0   // 000000007180: D3B70070 1A020160
	v_exp_f32_e32 v48, v48                                     // 000000007188: 7E604130
	v_exp_f32_e32 v49, v49                                     // 00000000718C: 7E624131
	v_exp_f32_e32 v50, v50                                     // 000000007190: 7E644132
	v_mfma_f32_32x32x16_bf16 v[112:127], a[100:103], a[4:7], v[112:127]// 000000007194: D3B70070 1DC20964
	v_exp_f32_e32 v51, v51                                     // 00000000719C: 7E664133
	v_exp_f32_e32 v52, v52                                     // 0000000071A0: 7E684134
	v_exp_f32_e32 v53, v53                                     // 0000000071A4: 7E6A4135
	v_mfma_f32_32x32x16_bf16 v[112:127], a[104:107], a[8:11], v[112:127]// 0000000071A8: D3B70070 1DC21168
	v_exp_f32_e32 v54, v54                                     // 0000000071B0: 7E6C4136
	v_exp_f32_e32 v55, v55                                     // 0000000071B4: 7E6E4137
	v_exp_f32_e32 v56, v56                                     // 0000000071B8: 7E704138
	v_mfma_f32_32x32x16_bf16 v[112:127], a[108:111], a[12:15], v[112:127]// 0000000071BC: D3B70070 1DC2196C
	v_exp_f32_e32 v57, v57                                     // 0000000071C4: 7E724139
	v_exp_f32_e32 v58, v58                                     // 0000000071C8: 7E74413A
	v_exp_f32_e32 v59, v59                                     // 0000000071CC: 7E76413B
	v_mfma_f32_32x32x16_bf16 v[112:127], a[112:115], a[16:19], v[112:127]// 0000000071D0: D3B70070 1DC22170
	v_exp_f32_e32 v60, v60                                     // 0000000071D8: 7E78413C
	v_exp_f32_e32 v61, v61                                     // 0000000071DC: 7E7A413D
	v_exp_f32_e32 v62, v62                                     // 0000000071E0: 7E7C413E
	v_mfma_f32_32x32x16_bf16 v[112:127], a[116:119], a[20:23], v[112:127]// 0000000071E4: D3B70070 1DC22974
	v_exp_f32_e32 v63, v63                                     // 0000000071EC: 7E7E413F
	v_exp_f32_e32 v64, v64                                     // 0000000071F0: 7E804140
	v_exp_f32_e32 v65, v65                                     // 0000000071F4: 7E824141
	v_mfma_f32_32x32x16_bf16 v[112:127], a[120:123], a[24:27], v[112:127]// 0000000071F8: D3B70070 1DC23178
	v_exp_f32_e32 v66, v66                                     // 000000007200: 7E844142
	v_exp_f32_e32 v67, v67                                     // 000000007204: 7E864143
	v_exp_f32_e32 v68, v68                                     // 000000007208: 7E884144
	v_mfma_f32_32x32x16_bf16 v[112:127], a[124:127], a[28:31], v[112:127]// 00000000720C: D3B70070 1DC2397C
	v_exp_f32_e32 v69, v69                                     // 000000007214: 7E8A4145
	v_exp_f32_e32 v70, v70                                     // 000000007218: 7E8C4146
	v_exp_f32_e32 v71, v71                                     // 00000000721C: 7E8E4147
	v_mfma_f32_32x32x16_bf16 v[112:127], a[128:131], a[32:35], v[112:127]// 000000007220: D3B70070 1DC24180
	v_exp_f32_e32 v72, v72                                     // 000000007228: 7E904148
	v_exp_f32_e32 v73, v73                                     // 00000000722C: 7E924149
	v_exp_f32_e32 v74, v74                                     // 000000007230: 7E94414A
	v_mfma_f32_32x32x16_bf16 v[112:127], a[132:135], a[36:39], v[112:127]// 000000007234: D3B70070 1DC24984
	v_exp_f32_e32 v75, v75                                     // 00000000723C: 7E96414B
	v_exp_f32_e32 v76, v76                                     // 000000007240: 7E98414C
	v_exp_f32_e32 v77, v77                                     // 000000007244: 7E9A414D
	v_mfma_f32_32x32x16_bf16 v[112:127], a[136:139], a[40:43], v[112:127]// 000000007248: D3B70070 1DC25188
	v_exp_f32_e32 v78, v78                                     // 000000007250: 7E9C414E
	v_exp_f32_e32 v79, v79                                     // 000000007254: 7E9E414F
	v_exp_f32_e32 v80, v80                                     // 000000007258: 7EA04150
	v_mfma_f32_32x32x16_bf16 v[112:127], a[140:143], a[44:47], v[112:127]// 00000000725C: D3B70070 1DC2598C
	v_exp_f32_e32 v81, v81                                     // 000000007264: 7EA24151
	v_exp_f32_e32 v82, v82                                     // 000000007268: 7EA44152
	v_exp_f32_e32 v83, v83                                     // 00000000726C: 7EA64153
	s_waitcnt vmcnt(10) lgkmcnt(0)                             // 000000007270: BF8C007A
	s_barrier                                                  // 000000007274: BF8A0000
	s_mov_b32 m0, s34                                          // 000000007278: BEFC0022
	v_mfma_f32_32x32x16_bf16 v[128:143], a[144:147], a[0:3], 0 // 00000000727C: D3B70080 1A020190
	ds_read_b64_tr_b16 a[48:49], v30                           // 000000007284: DBC60000 3000001E
	ds_read_b64_tr_b16 a[50:51], v30 offset:512                // 00000000728C: DBC60200 3200001E
	ds_read_b64_tr_b16 a[52:53], v30 offset:2176               // 000000007294: DBC60880 3400001E
	ds_read_b64_tr_b16 a[54:55], v30 offset:2688               // 00000000729C: DBC60A80 3600001E
	v_exp_f32_e32 v84, v84                                     // 0000000072A4: 7EA84154
	v_mfma_f32_32x32x16_bf16 v[128:143], a[148:151], a[4:7], v[128:143]// 0000000072A8: D3B70080 1E020994
	buffer_load_dwordx4 v13, s[12:15], s56 offen lds           // 0000000072B0: E05D1000 3803000D
	v_exp_f32_e32 v85, v85                                     // 0000000072B8: 7EAA4155
	v_exp_f32_e32 v86, v86                                     // 0000000072BC: 7EAC4156
	v_mfma_f32_32x32x16_bf16 v[128:143], a[152:155], a[8:11], v[128:143]// 0000000072C0: D3B70080 1E021198
	ds_read_b64_tr_b16 a[56:57], v30 offset:4352               // 0000000072C8: DBC61100 3800001E
	ds_read_b64_tr_b16 a[58:59], v30 offset:4864               // 0000000072D0: DBC61300 3A00001E
	ds_read_b64_tr_b16 a[60:61], v30 offset:6528               // 0000000072D8: DBC61980 3C00001E
	ds_read_b64_tr_b16 a[62:63], v30 offset:7040               // 0000000072E0: DBC61B80 3E00001E
	v_exp_f32_e32 v87, v87                                     // 0000000072E8: 7EAE4157
	v_mfma_f32_32x32x16_bf16 v[128:143], a[156:159], a[12:15], v[128:143]// 0000000072EC: D3B70080 1E02199C
	s_add_u32 m0, 0x1040, m0                                   // 0000000072F4: 807C7CFF 00001040
	buffer_load_dwordx4 v14, s[12:15], s56 offen lds           // 0000000072FC: E05D1000 3803000E
	s_add_u32 m0, 0x1040, m0                                   // 000000007304: 807C7CFF 00001040
	v_exp_f32_e32 v88, v88                                     // 00000000730C: 7EB04158
	v_mfma_f32_32x32x16_bf16 v[128:143], a[160:163], a[16:19], v[128:143]// 000000007310: D3B70080 1E0221A0
	ds_read_b64_tr_b16 a[64:65], v30 offset:64                 // 000000007318: DBC60040 4000001E
	ds_read_b64_tr_b16 a[66:67], v30 offset:576                // 000000007320: DBC60240 4200001E
	ds_read_b64_tr_b16 a[68:69], v30 offset:2240               // 000000007328: DBC608C0 4400001E
	ds_read_b64_tr_b16 a[70:71], v30 offset:2752               // 000000007330: DBC60AC0 4600001E
	v_exp_f32_e32 v89, v89                                     // 000000007338: 7EB24159
	v_mfma_f32_32x32x16_bf16 v[128:143], a[164:167], a[20:23], v[128:143]// 00000000733C: D3B70080 1E0229A4
	buffer_load_dwordx4 v15, s[12:15], s56 offen lds           // 000000007344: E05D1000 3803000F
	v_exp_f32_e32 v90, v90                                     // 00000000734C: 7EB4415A
	v_exp_f32_e32 v91, v91                                     // 000000007350: 7EB6415B
	v_mfma_f32_32x32x16_bf16 v[128:143], a[168:171], a[24:27], v[128:143]// 000000007354: D3B70080 1E0231A8
	ds_read_b64_tr_b16 a[72:73], v30 offset:4416               // 00000000735C: DBC61140 4800001E
	ds_read_b64_tr_b16 a[74:75], v30 offset:4928               // 000000007364: DBC61340 4A00001E
	ds_read_b64_tr_b16 a[76:77], v30 offset:6592               // 00000000736C: DBC619C0 4C00001E
	ds_read_b64_tr_b16 a[78:79], v30 offset:7104               // 000000007374: DBC61BC0 4E00001E
	v_exp_f32_e32 v92, v92                                     // 00000000737C: 7EB8415C
	v_mfma_f32_32x32x16_bf16 v[128:143], a[172:175], a[28:31], v[128:143]// 000000007380: D3B70080 1E0239AC
	s_add_u32 m0, 0x1040, m0                                   // 000000007388: 807C7CFF 00001040
	buffer_load_dwordx4 v16, s[12:15], s56 offen lds           // 000000007390: E05D1000 38030010
	s_add_u32 m0, 0x1040, m0                                   // 000000007398: 807C7CFF 00001040
	v_exp_f32_e32 v93, v93                                     // 0000000073A0: 7EBA415D
	v_mfma_f32_32x32x16_bf16 v[128:143], a[176:179], a[32:35], v[128:143]// 0000000073A4: D3B70080 1E0241B0
	ds_read_b64_tr_b16 a[80:81], v31                           // 0000000073AC: DBC60000 5000001F
	ds_read_b64_tr_b16 a[82:83], v31 offset:512                // 0000000073B4: DBC60200 5200001F
	ds_read_b64_tr_b16 a[84:85], v31 offset:2176               // 0000000073BC: DBC60880 5400001F
	ds_read_b64_tr_b16 a[86:87], v31 offset:2688               // 0000000073C4: DBC60A80 5600001F
	v_exp_f32_e32 v94, v94                                     // 0000000073CC: 7EBC415E
	v_mfma_f32_32x32x16_bf16 v[128:143], a[180:183], a[36:39], v[128:143]// 0000000073D0: D3B70080 1E0249B4
	buffer_load_dwordx4 v17, s[12:15], s56 offen lds           // 0000000073D8: E05D1000 38030011
	v_exp_f32_e32 v95, v95                                     // 0000000073E0: 7EBE415F
	v_mul_f32_e32 v232, v230, v232                             // 0000000073E4: 0BD1D1E6
	v_add_f32_e32 v234, v33, v32                               // 0000000073E8: 03D44121
	v_mfma_f32_32x32x16_bf16 v[128:143], a[184:187], a[40:43], v[128:143]// 0000000073EC: D3B70080 1E0251B8
	ds_read_b64_tr_b16 a[88:89], v31 offset:4352               // 0000000073F4: DBC61100 5800001F
	ds_read_b64_tr_b16 a[90:91], v31 offset:4864               // 0000000073FC: DBC61300 5A00001F
	ds_read_b64_tr_b16 a[92:93], v31 offset:6528               // 000000007404: DBC61980 5C00001F
	ds_read_b64_tr_b16 a[94:95], v31 offset:7040               // 00000000740C: DBC61B80 5E00001F
	v_add_f32_e32 v234, v34, v234                              // 000000007414: 03D5D522
	v_add_f32_e32 v234, v35, v234                              // 000000007418: 03D5D523
	v_mfma_f32_32x32x16_bf16 v[128:143], a[188:191], a[44:47], v[128:143]// 00000000741C: D3B70080 1E0259BC
	s_add_u32 m0, 0x1040, m0                                   // 000000007424: 807C7CFF 00001040
	buffer_load_dwordx4 v18, s[12:15], s56 offen lds           // 00000000742C: E05D1000 38030012
	s_add_u32 m0, 0x1040, m0                                   // 000000007434: 807C7CFF 00001040
	v_add_f32_e32 v234, v36, v234                              // 00000000743C: 03D5D524
	v_add_f32_e32 v234, v37, v234                              // 000000007440: 03D5D525
	v_mfma_f32_32x32x16_bf16 v[144:159], a[192:195], a[0:3], 0 // 000000007444: D3B70090 1A0201C0
	ds_read_b64_tr_b16 a[96:97], v31 offset:64                 // 00000000744C: DBC60040 6000001F
	ds_read_b64_tr_b16 a[98:99], v31 offset:576                // 000000007454: DBC60240 6200001F
	ds_read_b64_tr_b16 a[100:101], v31 offset:2240             // 00000000745C: DBC608C0 6400001F
	ds_read_b64_tr_b16 a[102:103], v31 offset:2752             // 000000007464: DBC60AC0 6600001F
	v_add_f32_e32 v234, v38, v234                              // 00000000746C: 03D5D526
	v_add_f32_e32 v234, v39, v234                              // 000000007470: 03D5D527
	v_mfma_f32_32x32x16_bf16 v[144:159], a[196:199], a[4:7], v[144:159]// 000000007474: D3B70090 1E4209C4
	v_add_f32_e32 v234, v40, v234                              // 00000000747C: 03D5D528
	v_add_f32_e32 v234, v41, v234                              // 000000007480: 03D5D529
	v_add_f32_e32 v234, v42, v234                              // 000000007484: 03D5D52A
	v_add_f32_e32 v234, v43, v234                              // 000000007488: 03D5D52B
	v_add_f32_e32 v234, v44, v234                              // 00000000748C: 03D5D52C
	v_add_f32_e32 v234, v45, v234                              // 000000007490: 03D5D52D
	v_mfma_f32_32x32x16_bf16 v[144:159], a[200:203], a[8:11], v[144:159]// 000000007494: D3B70090 1E4211C8
	ds_read_b64_tr_b16 a[104:105], v31 offset:4416             // 00000000749C: DBC61140 6800001F
	ds_read_b64_tr_b16 a[106:107], v31 offset:4928             // 0000000074A4: DBC61340 6A00001F
	ds_read_b64_tr_b16 a[108:109], v31 offset:6592             // 0000000074AC: DBC619C0 6C00001F
	ds_read_b64_tr_b16 a[110:111], v31 offset:7104             // 0000000074B4: DBC61BC0 6E00001F
	v_add_f32_e32 v234, v46, v234                              // 0000000074BC: 03D5D52E
	v_add_f32_e32 v234, v47, v234                              // 0000000074C0: 03D5D52F
	v_mfma_f32_32x32x16_bf16 v[144:159], a[204:207], a[12:15], v[144:159]// 0000000074C4: D3B70090 1E4219CC
	v_add_f32_e32 v234, v48, v234                              // 0000000074CC: 03D5D530
	v_add_f32_e32 v234, v49, v234                              // 0000000074D0: 03D5D531
	v_add_f32_e32 v234, v50, v234                              // 0000000074D4: 03D5D532
	v_add_f32_e32 v234, v51, v234                              // 0000000074D8: 03D5D533
	v_add_f32_e32 v234, v52, v234                              // 0000000074DC: 03D5D534
	v_add_f32_e32 v234, v53, v234                              // 0000000074E0: 03D5D535
	v_mfma_f32_32x32x16_bf16 v[144:159], a[208:211], a[16:19], v[144:159]// 0000000074E4: D3B70090 1E4221D0
	v_add_f32_e32 v234, v54, v234                              // 0000000074EC: 03D5D536
	v_add_f32_e32 v234, v55, v234                              // 0000000074F0: 03D5D537
	v_add_f32_e32 v234, v56, v234                              // 0000000074F4: 03D5D538
	v_add_f32_e32 v234, v57, v234                              // 0000000074F8: 03D5D539
	v_add_f32_e32 v234, v58, v234                              // 0000000074FC: 03D5D53A
	v_add_f32_e32 v234, v59, v234                              // 000000007500: 03D5D53B
	v_mfma_f32_32x32x16_bf16 v[144:159], a[212:215], a[20:23], v[144:159]// 000000007504: D3B70090 1E4229D4
	v_add_f32_e32 v234, v60, v234                              // 00000000750C: 03D5D53C
	v_add_f32_e32 v234, v61, v234                              // 000000007510: 03D5D53D
	v_add_f32_e32 v234, v62, v234                              // 000000007514: 03D5D53E
	v_add_f32_e32 v234, v63, v234                              // 000000007518: 03D5D53F
	v_nop                                                      // 00000000751C: 7E000000
	v_cvt_pk_bf16_f32 v32, v32, v33                            // 000000007520: D2680020 00024320
	v_mfma_f32_32x32x16_bf16 v[144:159], a[216:219], a[24:27], v[144:159]// 000000007528: D3B70090 1E4231D8
	v_cvt_pk_bf16_f32 v33, v34, v35                            // 000000007530: D2680021 00024722
	v_cvt_pk_bf16_f32 v34, v36, v37                            // 000000007538: D2680022 00024B24
	v_cvt_pk_bf16_f32 v35, v38, v39                            // 000000007540: D2680023 00024F26
	v_cvt_pk_bf16_f32 v36, v40, v41                            // 000000007548: D2680024 00025328
	v_cvt_pk_bf16_f32 v37, v42, v43                            // 000000007550: D2680025 0002572A
	v_cvt_pk_bf16_f32 v38, v44, v45                            // 000000007558: D2680026 00025B2C
	v_mfma_f32_32x32x16_bf16 v[144:159], a[220:223], a[28:31], v[144:159]// 000000007560: D3B70090 1E4239DC
	v_cvt_pk_bf16_f32 v39, v46, v47                            // 000000007568: D2680027 00025F2E
	v_cvt_pk_bf16_f32 v40, v48, v49                            // 000000007570: D2680028 00026330
	v_cvt_pk_bf16_f32 v41, v50, v51                            // 000000007578: D2680029 00026732
	v_cvt_pk_bf16_f32 v42, v52, v53                            // 000000007580: D268002A 00026B34
	v_cvt_pk_bf16_f32 v43, v54, v55                            // 000000007588: D268002B 00026F36
	v_cvt_pk_bf16_f32 v44, v56, v57                            // 000000007590: D268002C 00027338
	v_mfma_f32_32x32x16_bf16 v[144:159], a[224:227], a[32:35], v[144:159]// 000000007598: D3B70090 1E4241E0
	v_cvt_pk_bf16_f32 v45, v58, v59                            // 0000000075A0: D268002D 0002773A
	v_cvt_pk_bf16_f32 v46, v60, v61                            // 0000000075A8: D268002E 00027B3C
	v_cvt_pk_bf16_f32 v47, v62, v63                            // 0000000075B0: D268002F 00027F3E
	v_nop                                                      // 0000000075B8: 7E000000
	v_mov_b32_e32 v235, 0                                      // 0000000075BC: 7FD60280
	v_pk_add_f32 v[234:235], v[64:65], v[234:235]              // 0000000075C0: D3B240EA 1803D540
	v_pk_add_f32 v[234:235], v[66:67], v[234:235]              // 0000000075C8: D3B240EA 1803D542
	v_pk_add_f32 v[234:235], v[68:69], v[234:235]              // 0000000075D0: D3B240EA 1803D544
	v_pk_add_f32 v[234:235], v[70:71], v[234:235]              // 0000000075D8: D3B240EA 1803D546
	v_pk_add_f32 v[234:235], v[72:73], v[234:235]              // 0000000075E0: D3B240EA 1803D548
	v_pk_add_f32 v[234:235], v[74:75], v[234:235]              // 0000000075E8: D3B240EA 1803D54A
	v_pk_add_f32 v[234:235], v[76:77], v[234:235]              // 0000000075F0: D3B240EA 1803D54C
	v_pk_add_f32 v[234:235], v[78:79], v[234:235]              // 0000000075F8: D3B240EA 1803D54E
	v_pk_add_f32 v[234:235], v[80:81], v[234:235]              // 000000007600: D3B240EA 1803D550
	v_pk_add_f32 v[234:235], v[82:83], v[234:235]              // 000000007608: D3B240EA 1803D552
	v_pk_add_f32 v[234:235], v[84:85], v[234:235]              // 000000007610: D3B240EA 1803D554
	v_pk_add_f32 v[234:235], v[86:87], v[234:235]              // 000000007618: D3B240EA 1803D556
	v_pk_add_f32 v[234:235], v[88:89], v[234:235]              // 000000007620: D3B240EA 1803D558
	v_pk_add_f32 v[234:235], v[90:91], v[234:235]              // 000000007628: D3B240EA 1803D55A
	v_pk_add_f32 v[234:235], v[92:93], v[234:235]              // 000000007630: D3B240EA 1803D55C
	v_pk_add_f32 v[234:235], v[94:95], v[234:235]              // 000000007638: D3B240EA 1803D55E
	v_add_f32_e32 v234, v234, v235                             // 000000007640: 03D5D7EA
	v_mfma_f32_32x32x16_bf16 v[144:159], a[228:231], a[36:39], v[144:159]// 000000007644: D3B70090 1E4249E4
	v_mov_b32_e32 v238, v234                                   // 00000000764C: 7FDC03EA
	v_mul_f32_e32 v160, v230, v160                             // 000000007650: 0B4141E6
	v_mul_f32_e32 v161, v230, v161                             // 000000007654: 0B4343E6
	v_permlane32_swap_b32_e32 v238, v234                       // 000000007658: 7FDCB5EA
	v_add_f32_e32 v238, v238, v234                             // 00000000765C: 03DDD5EE
	v_mfma_f32_32x32x16_bf16 v[144:159], a[232:235], a[40:43], v[144:159]// 000000007660: D3B70090 1E4251E8
	v_add_f32_e32 v232, v238, v232                             // 000000007668: 03D1D1EE
	v_mov_b32_e32 v231, v230                                   // 00000000766C: 7FCE03E6
	v_cvt_pk_bf16_f32 v48, v64, v65                            // 000000007670: D2680030 00028340
	v_cvt_pk_bf16_f32 v49, v66, v67                            // 000000007678: D2680031 00028742
	v_cvt_pk_bf16_f32 v50, v68, v69                            // 000000007680: D2680032 00028B44
	v_cvt_pk_bf16_f32 v51, v70, v71                            // 000000007688: D2680033 00028F46
	s_add_i32 s56, s58, s56                                    // 000000007690: 8138383A
	s_nop 0                                                    // 000000007694: BF800000
	v_cvt_pk_bf16_f32 v52, v72, v73                            // 000000007698: D2680034 00029348
	v_cvt_pk_bf16_f32 v53, v74, v75                            // 0000000076A0: D2680035 0002974A
	v_cvt_pk_bf16_f32 v54, v76, v77                            // 0000000076A8: D2680036 00029B4C
	v_cvt_pk_bf16_f32 v55, v78, v79                            // 0000000076B0: D2680037 00029F4E
	v_cvt_pk_bf16_f32 v56, v80, v81                            // 0000000076B8: D2680038 0002A350
	v_cvt_pk_bf16_f32 v57, v82, v83                            // 0000000076C0: D2680039 0002A752
	v_cvt_pk_bf16_f32 v58, v84, v85                            // 0000000076C8: D268003A 0002AB54
	v_cvt_pk_bf16_f32 v59, v86, v87                            // 0000000076D0: D268003B 0002AF56
	v_cvt_pk_bf16_f32 v60, v88, v89                            // 0000000076D8: D268003C 0002B358
	v_cvt_pk_bf16_f32 v61, v90, v91                            // 0000000076E0: D268003D 0002B75A
	v_cvt_pk_bf16_f32 v62, v92, v93                            // 0000000076E8: D268003E 0002BB5C
	v_cvt_pk_bf16_f32 v63, v94, v95                            // 0000000076F0: D268003F 0002BF5E
	v_pk_mul_f32 v[162:163], v[230:231], v[162:163]            // 0000000076F8: D3B140A2 180345E6
	v_pk_mul_f32 v[164:165], v[230:231], v[164:165]            // 000000007700: D3B140A4 180349E6
	v_pk_mul_f32 v[166:167], v[230:231], v[166:167]            // 000000007708: D3B140A6 18034DE6
	v_pk_mul_f32 v[168:169], v[230:231], v[168:169]            // 000000007710: D3B140A8 180351E6
	v_pk_mul_f32 v[170:171], v[230:231], v[170:171]            // 000000007718: D3B140AA 180355E6
	v_pk_mul_f32 v[172:173], v[230:231], v[172:173]            // 000000007720: D3B140AC 180359E6
	v_pk_mul_f32 v[174:175], v[230:231], v[174:175]            // 000000007728: D3B140AE 18035DE6
	v_pk_mul_f32 v[176:177], v[230:231], v[176:177]            // 000000007730: D3B140B0 180361E6
	v_pk_mul_f32 v[178:179], v[230:231], v[178:179]            // 000000007738: D3B140B2 180365E6
	v_pk_mul_f32 v[180:181], v[230:231], v[180:181]            // 000000007740: D3B140B4 180369E6
	v_pk_mul_f32 v[182:183], v[230:231], v[182:183]            // 000000007748: D3B140B6 18036DE6
	v_pk_mul_f32 v[184:185], v[230:231], v[184:185]            // 000000007750: D3B140B8 180371E6
	v_pk_mul_f32 v[186:187], v[230:231], v[186:187]            // 000000007758: D3B140BA 180375E6
	v_pk_mul_f32 v[188:189], v[230:231], v[188:189]            // 000000007760: D3B140BC 180379E6
	v_pk_mul_f32 v[190:191], v[230:231], v[190:191]            // 000000007768: D3B140BE 18037DE6
	v_pk_mul_f32 v[192:193], v[230:231], v[192:193]            // 000000007770: D3B140C0 180381E6
	v_pk_mul_f32 v[194:195], v[230:231], v[194:195]            // 000000007778: D3B140C2 180385E6
	v_pk_mul_f32 v[196:197], v[230:231], v[196:197]            // 000000007780: D3B140C4 180389E6
	v_pk_mul_f32 v[198:199], v[230:231], v[198:199]            // 000000007788: D3B140C6 18038DE6
	v_pk_mul_f32 v[200:201], v[230:231], v[200:201]            // 000000007790: D3B140C8 180391E6
	v_pk_mul_f32 v[202:203], v[230:231], v[202:203]            // 000000007798: D3B140CA 180395E6
	v_pk_mul_f32 v[204:205], v[230:231], v[204:205]            // 0000000077A0: D3B140CC 180399E6
	v_pk_mul_f32 v[206:207], v[230:231], v[206:207]            // 0000000077A8: D3B140CE 18039DE6
	v_pk_mul_f32 v[208:209], v[230:231], v[208:209]            // 0000000077B0: D3B140D0 1803A1E6
	v_pk_mul_f32 v[210:211], v[230:231], v[210:211]            // 0000000077B8: D3B140D2 1803A5E6
	v_pk_mul_f32 v[212:213], v[230:231], v[212:213]            // 0000000077C0: D3B140D4 1803A9E6
	v_pk_mul_f32 v[214:215], v[230:231], v[214:215]            // 0000000077C8: D3B140D6 1803ADE6
	v_pk_mul_f32 v[216:217], v[230:231], v[216:217]            // 0000000077D0: D3B140D8 1803B1E6
	v_pk_mul_f32 v[218:219], v[230:231], v[218:219]            // 0000000077D8: D3B140DA 1803B5E6
	v_pk_mul_f32 v[220:221], v[230:231], v[220:221]            // 0000000077E0: D3B140DC 1803B9E6
	v_pk_mul_f32 v[222:223], v[230:231], v[222:223]            // 0000000077E8: D3B140DE 1803BDE6
	s_nop 0                                                    // 0000000077F0: BF800000
	s_cmp_lt_i32 s62, s65                                      // 0000000077F4: BF04413E
	v_mfma_f32_32x32x16_bf16 v[144:159], a[236:239], a[44:47], v[144:159]// 0000000077F8: D3B70090 1E4259EC
	s_cbranch_scc1 label_1246                                  // 000000007800: BF850105
	s_sub_i32 s72, s38, s62                                    // 000000007804: 81C83E26
	v_sub_i32 v226, s72, v241                                  // 000000007808: D29D00E2 0003E248
	v_cmp_lt_i32_e64 s[68:69], 0, v226                         // 000000007810: D0C10044 0003C480
	v_cmp_lt_i32_e64 s[70:71], 1, v226                         // 000000007818: D0C10046 0003C481
	v_cndmask_b32_e64 v96, v225, v96, s[68:69]                 // 000000007820: D1000060 0112C1E1
	v_cndmask_b32_e64 v97, v225, v97, s[70:71]                 // 000000007828: D1000061 011AC3E1
	v_cmp_lt_i32_e64 s[68:69], 2, v226                         // 000000007830: D0C10044 0003C482
	v_cmp_lt_i32_e64 s[70:71], 3, v226                         // 000000007838: D0C10046 0003C483
	v_cndmask_b32_e64 v98, v225, v98, s[68:69]                 // 000000007840: D1000062 0112C5E1
	v_cndmask_b32_e64 v99, v225, v99, s[70:71]                 // 000000007848: D1000063 011AC7E1
	v_cmp_lt_i32_e64 s[68:69], 8, v226                         // 000000007850: D0C10044 0003C488
	v_cmp_lt_i32_e64 s[70:71], 9, v226                         // 000000007858: D0C10046 0003C489
	v_cndmask_b32_e64 v100, v225, v100, s[68:69]               // 000000007860: D1000064 0112C9E1
	v_cndmask_b32_e64 v101, v225, v101, s[70:71]               // 000000007868: D1000065 011ACBE1
	v_cmp_lt_i32_e64 s[68:69], 10, v226                        // 000000007870: D0C10044 0003C48A
	v_cmp_lt_i32_e64 s[70:71], 11, v226                        // 000000007878: D0C10046 0003C48B
	v_cndmask_b32_e64 v102, v225, v102, s[68:69]               // 000000007880: D1000066 0112CDE1
	v_cndmask_b32_e64 v103, v225, v103, s[70:71]               // 000000007888: D1000067 011ACFE1
	v_cmp_lt_i32_e64 s[68:69], 16, v226                        // 000000007890: D0C10044 0003C490
	v_cmp_lt_i32_e64 s[70:71], 17, v226                        // 000000007898: D0C10046 0003C491
	v_cndmask_b32_e64 v104, v225, v104, s[68:69]               // 0000000078A0: D1000068 0112D1E1
	v_cndmask_b32_e64 v105, v225, v105, s[70:71]               // 0000000078A8: D1000069 011AD3E1
	v_cmp_lt_i32_e64 s[68:69], 18, v226                        // 0000000078B0: D0C10044 0003C492
	v_cmp_lt_i32_e64 s[70:71], 19, v226                        // 0000000078B8: D0C10046 0003C493
	v_cndmask_b32_e64 v106, v225, v106, s[68:69]               // 0000000078C0: D100006A 0112D5E1
	v_cndmask_b32_e64 v107, v225, v107, s[70:71]               // 0000000078C8: D100006B 011AD7E1
	v_cmp_lt_i32_e64 s[68:69], 24, v226                        // 0000000078D0: D0C10044 0003C498
	v_cmp_lt_i32_e64 s[70:71], 25, v226                        // 0000000078D8: D0C10046 0003C499
	v_cndmask_b32_e64 v108, v225, v108, s[68:69]               // 0000000078E0: D100006C 0112D9E1
	v_cndmask_b32_e64 v109, v225, v109, s[70:71]               // 0000000078E8: D100006D 011ADBE1
	v_cmp_lt_i32_e64 s[68:69], 26, v226                        // 0000000078F0: D0C10044 0003C49A
	v_cmp_lt_i32_e64 s[70:71], 27, v226                        // 0000000078F8: D0C10046 0003C49B
	v_cndmask_b32_e64 v110, v225, v110, s[68:69]               // 000000007900: D100006E 0112DDE1
	v_cndmask_b32_e64 v111, v225, v111, s[70:71]               // 000000007908: D100006F 011ADFE1
	v_cmp_lt_i32_e64 s[68:69], 32, v226                        // 000000007910: D0C10044 0003C4A0
	v_cmp_lt_i32_e64 s[70:71], 33, v226                        // 000000007918: D0C10046 0003C4A1
	v_cndmask_b32_e64 v112, v225, v112, s[68:69]               // 000000007920: D1000070 0112E1E1
	v_cndmask_b32_e64 v113, v225, v113, s[70:71]               // 000000007928: D1000071 011AE3E1
	v_cmp_lt_i32_e64 s[68:69], 34, v226                        // 000000007930: D0C10044 0003C4A2
	v_cmp_lt_i32_e64 s[70:71], 35, v226                        // 000000007938: D0C10046 0003C4A3
	v_cndmask_b32_e64 v114, v225, v114, s[68:69]               // 000000007940: D1000072 0112E5E1
	v_cndmask_b32_e64 v115, v225, v115, s[70:71]               // 000000007948: D1000073 011AE7E1
	v_cmp_lt_i32_e64 s[68:69], 40, v226                        // 000000007950: D0C10044 0003C4A8
	v_cmp_lt_i32_e64 s[70:71], 41, v226                        // 000000007958: D0C10046 0003C4A9
	v_cndmask_b32_e64 v116, v225, v116, s[68:69]               // 000000007960: D1000074 0112E9E1
	v_cndmask_b32_e64 v117, v225, v117, s[70:71]               // 000000007968: D1000075 011AEBE1
	v_cmp_lt_i32_e64 s[68:69], 42, v226                        // 000000007970: D0C10044 0003C4AA
	v_cmp_lt_i32_e64 s[70:71], 43, v226                        // 000000007978: D0C10046 0003C4AB
	v_cndmask_b32_e64 v118, v225, v118, s[68:69]               // 000000007980: D1000076 0112EDE1
	v_cndmask_b32_e64 v119, v225, v119, s[70:71]               // 000000007988: D1000077 011AEFE1
	v_cmp_lt_i32_e64 s[68:69], 48, v226                        // 000000007990: D0C10044 0003C4B0
	v_cmp_lt_i32_e64 s[70:71], 49, v226                        // 000000007998: D0C10046 0003C4B1
	v_cndmask_b32_e64 v120, v225, v120, s[68:69]               // 0000000079A0: D1000078 0112F1E1
	v_cndmask_b32_e64 v121, v225, v121, s[70:71]               // 0000000079A8: D1000079 011AF3E1
	v_cmp_lt_i32_e64 s[68:69], 50, v226                        // 0000000079B0: D0C10044 0003C4B2
	v_cmp_lt_i32_e64 s[70:71], 51, v226                        // 0000000079B8: D0C10046 0003C4B3
	v_cndmask_b32_e64 v122, v225, v122, s[68:69]               // 0000000079C0: D100007A 0112F5E1
	v_cndmask_b32_e64 v123, v225, v123, s[70:71]               // 0000000079C8: D100007B 011AF7E1
	v_cmp_lt_i32_e64 s[68:69], 56, v226                        // 0000000079D0: D0C10044 0003C4B8
	v_cmp_lt_i32_e64 s[70:71], 57, v226                        // 0000000079D8: D0C10046 0003C4B9
	v_cndmask_b32_e64 v124, v225, v124, s[68:69]               // 0000000079E0: D100007C 0112F9E1
	v_cndmask_b32_e64 v125, v225, v125, s[70:71]               // 0000000079E8: D100007D 011AFBE1
	v_cmp_lt_i32_e64 s[68:69], 58, v226                        // 0000000079F0: D0C10044 0003C4BA
	v_cmp_lt_i32_e64 s[70:71], 59, v226                        // 0000000079F8: D0C10046 0003C4BB
	v_cndmask_b32_e64 v126, v225, v126, s[68:69]               // 000000007A00: D100007E 0112FDE1
	v_cndmask_b32_e64 v127, v225, v127, s[70:71]               // 000000007A08: D100007F 011AFFE1
	v_sub_i32 v226, v226, 64                                   // 000000007A10: D29D00E2 000181E2
	v_cmp_lt_i32_e64 s[68:69], 0, v226                         // 000000007A18: D0C10044 0003C480
	v_cmp_lt_i32_e64 s[70:71], 1, v226                         // 000000007A20: D0C10046 0003C481
	v_cndmask_b32_e64 v128, v225, v128, s[68:69]               // 000000007A28: D1000080 011301E1
	v_cndmask_b32_e64 v129, v225, v129, s[70:71]               // 000000007A30: D1000081 011B03E1
	v_cmp_lt_i32_e64 s[68:69], 2, v226                         // 000000007A38: D0C10044 0003C482
	v_cmp_lt_i32_e64 s[70:71], 3, v226                         // 000000007A40: D0C10046 0003C483
	v_cndmask_b32_e64 v130, v225, v130, s[68:69]               // 000000007A48: D1000082 011305E1
	v_cndmask_b32_e64 v131, v225, v131, s[70:71]               // 000000007A50: D1000083 011B07E1
	v_cmp_lt_i32_e64 s[68:69], 8, v226                         // 000000007A58: D0C10044 0003C488
	v_cmp_lt_i32_e64 s[70:71], 9, v226                         // 000000007A60: D0C10046 0003C489
	v_cndmask_b32_e64 v132, v225, v132, s[68:69]               // 000000007A68: D1000084 011309E1
	v_cndmask_b32_e64 v133, v225, v133, s[70:71]               // 000000007A70: D1000085 011B0BE1
	v_cmp_lt_i32_e64 s[68:69], 10, v226                        // 000000007A78: D0C10044 0003C48A
	v_cmp_lt_i32_e64 s[70:71], 11, v226                        // 000000007A80: D0C10046 0003C48B
	v_cndmask_b32_e64 v134, v225, v134, s[68:69]               // 000000007A88: D1000086 01130DE1
	v_cndmask_b32_e64 v135, v225, v135, s[70:71]               // 000000007A90: D1000087 011B0FE1
	v_cmp_lt_i32_e64 s[68:69], 16, v226                        // 000000007A98: D0C10044 0003C490
	v_cmp_lt_i32_e64 s[70:71], 17, v226                        // 000000007AA0: D0C10046 0003C491
	v_cndmask_b32_e64 v136, v225, v136, s[68:69]               // 000000007AA8: D1000088 011311E1
	v_cndmask_b32_e64 v137, v225, v137, s[70:71]               // 000000007AB0: D1000089 011B13E1
	v_cmp_lt_i32_e64 s[68:69], 18, v226                        // 000000007AB8: D0C10044 0003C492
	v_cmp_lt_i32_e64 s[70:71], 19, v226                        // 000000007AC0: D0C10046 0003C493
	v_cndmask_b32_e64 v138, v225, v138, s[68:69]               // 000000007AC8: D100008A 011315E1
	v_cndmask_b32_e64 v139, v225, v139, s[70:71]               // 000000007AD0: D100008B 011B17E1
	v_cmp_lt_i32_e64 s[68:69], 24, v226                        // 000000007AD8: D0C10044 0003C498
	v_cmp_lt_i32_e64 s[70:71], 25, v226                        // 000000007AE0: D0C10046 0003C499
	v_cndmask_b32_e64 v140, v225, v140, s[68:69]               // 000000007AE8: D100008C 011319E1
	v_cndmask_b32_e64 v141, v225, v141, s[70:71]               // 000000007AF0: D100008D 011B1BE1
	v_cmp_lt_i32_e64 s[68:69], 26, v226                        // 000000007AF8: D0C10044 0003C49A
	v_cmp_lt_i32_e64 s[70:71], 27, v226                        // 000000007B00: D0C10046 0003C49B
	v_cndmask_b32_e64 v142, v225, v142, s[68:69]               // 000000007B08: D100008E 01131DE1
	v_cndmask_b32_e64 v143, v225, v143, s[70:71]               // 000000007B10: D100008F 011B1FE1
	v_cmp_lt_i32_e64 s[68:69], 32, v226                        // 000000007B18: D0C10044 0003C4A0
	v_cmp_lt_i32_e64 s[70:71], 33, v226                        // 000000007B20: D0C10046 0003C4A1
	v_cndmask_b32_e64 v144, v225, v144, s[68:69]               // 000000007B28: D1000090 011321E1
	v_cndmask_b32_e64 v145, v225, v145, s[70:71]               // 000000007B30: D1000091 011B23E1
	v_cmp_lt_i32_e64 s[68:69], 34, v226                        // 000000007B38: D0C10044 0003C4A2
	v_cmp_lt_i32_e64 s[70:71], 35, v226                        // 000000007B40: D0C10046 0003C4A3
	v_cndmask_b32_e64 v146, v225, v146, s[68:69]               // 000000007B48: D1000092 011325E1
	v_cndmask_b32_e64 v147, v225, v147, s[70:71]               // 000000007B50: D1000093 011B27E1
	v_cmp_lt_i32_e64 s[68:69], 40, v226                        // 000000007B58: D0C10044 0003C4A8
	v_cmp_lt_i32_e64 s[70:71], 41, v226                        // 000000007B60: D0C10046 0003C4A9
	v_cndmask_b32_e64 v148, v225, v148, s[68:69]               // 000000007B68: D1000094 011329E1
	v_cndmask_b32_e64 v149, v225, v149, s[70:71]               // 000000007B70: D1000095 011B2BE1
	v_cmp_lt_i32_e64 s[68:69], 42, v226                        // 000000007B78: D0C10044 0003C4AA
	v_cmp_lt_i32_e64 s[70:71], 43, v226                        // 000000007B80: D0C10046 0003C4AB
	v_cndmask_b32_e64 v150, v225, v150, s[68:69]               // 000000007B88: D1000096 01132DE1
	v_cndmask_b32_e64 v151, v225, v151, s[70:71]               // 000000007B90: D1000097 011B2FE1
	v_cmp_lt_i32_e64 s[68:69], 48, v226                        // 000000007B98: D0C10044 0003C4B0
	v_cmp_lt_i32_e64 s[70:71], 49, v226                        // 000000007BA0: D0C10046 0003C4B1
	v_cndmask_b32_e64 v152, v225, v152, s[68:69]               // 000000007BA8: D1000098 011331E1
	v_cndmask_b32_e64 v153, v225, v153, s[70:71]               // 000000007BB0: D1000099 011B33E1
	v_cmp_lt_i32_e64 s[68:69], 50, v226                        // 000000007BB8: D0C10044 0003C4B2
	v_cmp_lt_i32_e64 s[70:71], 51, v226                        // 000000007BC0: D0C10046 0003C4B3
	v_cndmask_b32_e64 v154, v225, v154, s[68:69]               // 000000007BC8: D100009A 011335E1
	v_cndmask_b32_e64 v155, v225, v155, s[70:71]               // 000000007BD0: D100009B 011B37E1
	v_cmp_lt_i32_e64 s[68:69], 56, v226                        // 000000007BD8: D0C10044 0003C4B8
	v_cmp_lt_i32_e64 s[70:71], 57, v226                        // 000000007BE0: D0C10046 0003C4B9
	v_cndmask_b32_e64 v156, v225, v156, s[68:69]               // 000000007BE8: D100009C 011339E1
	v_cndmask_b32_e64 v157, v225, v157, s[70:71]               // 000000007BF0: D100009D 011B3BE1
	v_cmp_lt_i32_e64 s[68:69], 58, v226                        // 000000007BF8: D0C10044 0003C4BA
	v_cmp_lt_i32_e64 s[70:71], 59, v226                        // 000000007C00: D0C10046 0003C4BB
	v_cndmask_b32_e64 v158, v225, v158, s[68:69]               // 000000007C08: D100009E 01133DE1
	v_cndmask_b32_e64 v159, v225, v159, s[70:71]               // 000000007C10: D100009F 011B3FE1

0000000000007c18 <label_1246>:
	s_waitcnt vmcnt(12) lgkmcnt(0)                             // 000000007C18: BF8C007C
	s_barrier                                                  // 000000007C1C: BF8A0000
	s_mov_b32 m0, s35                                          // 000000007C20: BEFC0023
	v_mfma_f32_32x32x16_bf16 v[160:175], a[48:51], v[32:35], v[160:175]// 000000007C24: D3B700A0 0E824130
	ds_read_b64_tr_b16 a[144:145], v30 offset:17408            // 000000007C2C: DBC64400 9000001E
	ds_read_b64_tr_b16 a[146:147], v30 offset:17920            // 000000007C34: DBC64600 9200001E
	ds_read_b64_tr_b16 a[148:149], v30 offset:19584            // 000000007C3C: DBC64C80 9400001E
	ds_read_b64_tr_b16 a[150:151], v30 offset:20096            // 000000007C44: DBC64E80 9600001E
	v_mov_b32_e32 v237, v233                                   // 000000007C4C: 7FDA03E9
	v_max3_f32 v237, v96, v97, v237                            // 000000007C50: D1D300ED 07B6C360
	v_mfma_f32_32x32x16_bf16 v[160:175], a[52:55], v[36:39], v[160:175]// 000000007C58: D3B700A0 0E824934
	buffer_load_dwordx4 v19, s[16:19], s57 offen lds           // 000000007C60: E05D1000 39040013
	v_max3_f32 v237, v98, v99, v237                            // 000000007C68: D1D300ED 07B6C762
	v_max3_f32 v237, v100, v101, v237                          // 000000007C70: D1D300ED 07B6CB64
	v_max3_f32 v237, v102, v103, v237                          // 000000007C78: D1D300ED 07B6CF66
	v_max3_f32 v237, v104, v105, v237                          // 000000007C80: D1D300ED 07B6D368
	v_mfma_f32_32x32x16_bf16 v[160:175], a[56:59], v[40:43], v[160:175]// 000000007C88: D3B700A0 0E825138
	ds_read_b64_tr_b16 a[152:153], v30 offset:21760            // 000000007C90: DBC65500 9800001E
	ds_read_b64_tr_b16 a[154:155], v30 offset:22272            // 000000007C98: DBC65700 9A00001E
	ds_read_b64_tr_b16 a[156:157], v30 offset:23936            // 000000007CA0: DBC65D80 9C00001E
	ds_read_b64_tr_b16 a[158:159], v30 offset:24448            // 000000007CA8: DBC65F80 9E00001E
	v_max3_f32 v237, v106, v107, v237                          // 000000007CB0: D1D300ED 07B6D76A
	v_max3_f32 v237, v108, v109, v237                          // 000000007CB8: D1D300ED 07B6DB6C
	v_mfma_f32_32x32x16_bf16 v[160:175], a[60:63], v[44:47], v[160:175]// 000000007CC0: D3B700A0 0E82593C
	s_add_u32 m0, 0x1100, m0                                   // 000000007CC8: 807C7CFF 00001100
	buffer_load_dwordx4 v20, s[16:19], s57 offen lds           // 000000007CD0: E05D1000 39040014
	s_add_u32 m0, 0x1100, m0                                   // 000000007CD8: 807C7CFF 00001100
	v_max3_f32 v237, v110, v111, v237                          // 000000007CE0: D1D300ED 07B6DF6E
	v_max3_f32 v237, v112, v113, v237                          // 000000007CE8: D1D300ED 07B6E370
	v_mfma_f32_32x32x16_bf16 v[176:191], a[64:67], v[32:35], v[176:191]// 000000007CF0: D3B700B0 0EC24140
	ds_read_b64_tr_b16 a[160:161], v30 offset:17472            // 000000007CF8: DBC64440 A000001E
	ds_read_b64_tr_b16 a[162:163], v30 offset:17984            // 000000007D00: DBC64640 A200001E
	ds_read_b64_tr_b16 a[164:165], v30 offset:19648            // 000000007D08: DBC64CC0 A400001E
	ds_read_b64_tr_b16 a[166:167], v30 offset:20160            // 000000007D10: DBC64EC0 A600001E
	v_max3_f32 v237, v114, v115, v237                          // 000000007D18: D1D300ED 07B6E772
	v_max3_f32 v237, v116, v117, v237                          // 000000007D20: D1D300ED 07B6EB74
	v_mfma_f32_32x32x16_bf16 v[176:191], a[68:71], v[36:39], v[176:191]// 000000007D28: D3B700B0 0EC24944
	buffer_load_dwordx4 v21, s[16:19], s57 offen lds           // 000000007D30: E05D1000 39040015
	v_max3_f32 v237, v118, v119, v237                          // 000000007D38: D1D300ED 07B6EF76
	v_max3_f32 v237, v120, v121, v237                          // 000000007D40: D1D300ED 07B6F378
	v_max3_f32 v237, v122, v123, v237                          // 000000007D48: D1D300ED 07B6F77A
	v_max3_f32 v237, v124, v125, v237                          // 000000007D50: D1D300ED 07B6FB7C
	v_mfma_f32_32x32x16_bf16 v[176:191], a[72:75], v[40:43], v[176:191]// 000000007D58: D3B700B0 0EC25148
	ds_read_b64_tr_b16 a[168:169], v30 offset:21824            // 000000007D60: DBC65540 A800001E
	ds_read_b64_tr_b16 a[170:171], v30 offset:22336            // 000000007D68: DBC65740 AA00001E
	ds_read_b64_tr_b16 a[172:173], v30 offset:24000            // 000000007D70: DBC65DC0 AC00001E
	ds_read_b64_tr_b16 a[174:175], v30 offset:24512            // 000000007D78: DBC65FC0 AE00001E
	v_max3_f32 v237, v126, v127, v237                          // 000000007D80: D1D300ED 07B6FF7E
	v_max3_f32 v237, v128, v129, v237                          // 000000007D88: D1D300ED 07B70380
	v_mfma_f32_32x32x16_bf16 v[176:191], a[76:79], v[44:47], v[176:191]// 000000007D90: D3B700B0 0EC2594C
	s_add_u32 m0, 0x1100, m0                                   // 000000007D98: 807C7CFF 00001100
	buffer_load_dwordx4 v22, s[16:19], s57 offen lds           // 000000007DA0: E05D1000 39040016
	s_add_u32 m0, 0x1100, m0                                   // 000000007DA8: 807C7CFF 00001100
	v_max3_f32 v237, v130, v131, v237                          // 000000007DB0: D1D300ED 07B70782
	v_max3_f32 v237, v132, v133, v237                          // 000000007DB8: D1D300ED 07B70B84
	v_mfma_f32_32x32x16_bf16 v[192:207], a[80:83], v[32:35], v[192:207]// 000000007DC0: D3B700C0 0F024150
	ds_read_b64_tr_b16 a[176:177], v31 offset:17408            // 000000007DC8: DBC64400 B000001F
	ds_read_b64_tr_b16 a[178:179], v31 offset:17920            // 000000007DD0: DBC64600 B200001F
	ds_read_b64_tr_b16 a[180:181], v31 offset:19584            // 000000007DD8: DBC64C80 B400001F
	ds_read_b64_tr_b16 a[182:183], v31 offset:20096            // 000000007DE0: DBC64E80 B600001F
	v_max3_f32 v237, v134, v135, v237                          // 000000007DE8: D1D300ED 07B70F86
	v_max3_f32 v237, v136, v137, v237                          // 000000007DF0: D1D300ED 07B71388
	v_mfma_f32_32x32x16_bf16 v[192:207], a[84:87], v[36:39], v[192:207]// 000000007DF8: D3B700C0 0F024954
	v_max3_f32 v237, v138, v139, v237                          // 000000007E00: D1D300ED 07B7178A
	v_max3_f32 v237, v140, v141, v237                          // 000000007E08: D1D300ED 07B71B8C
	v_max3_f32 v237, v142, v143, v237                          // 000000007E10: D1D300ED 07B71F8E
	v_max3_f32 v237, v144, v145, v237                          // 000000007E18: D1D300ED 07B72390
	v_max3_f32 v237, v146, v147, v237                          // 000000007E20: D1D300ED 07B72792
	v_max3_f32 v237, v148, v149, v237                          // 000000007E28: D1D300ED 07B72B94
	v_mfma_f32_32x32x16_bf16 v[192:207], a[88:91], v[40:43], v[192:207]// 000000007E30: D3B700C0 0F025158
	ds_read_b64_tr_b16 a[184:185], v31 offset:21760            // 000000007E38: DBC65500 B800001F
	ds_read_b64_tr_b16 a[186:187], v31 offset:22272            // 000000007E40: DBC65700 BA00001F
	ds_read_b64_tr_b16 a[188:189], v31 offset:23936            // 000000007E48: DBC65D80 BC00001F
	ds_read_b64_tr_b16 a[190:191], v31 offset:24448            // 000000007E50: DBC65F80 BE00001F
	v_max3_f32 v237, v150, v151, v237                          // 000000007E58: D1D300ED 07B72F96
	v_max3_f32 v237, v152, v153, v237                          // 000000007E60: D1D300ED 07B73398
	v_mfma_f32_32x32x16_bf16 v[192:207], a[92:95], v[44:47], v[192:207]// 000000007E68: D3B700C0 0F02595C
	v_max3_f32 v237, v154, v155, v237                          // 000000007E70: D1D300ED 07B7379A
	v_max3_f32 v237, v156, v157, v237                          // 000000007E78: D1D300ED 07B73B9C
	v_max3_f32 v237, v158, v159, v237                          // 000000007E80: D1D300ED 07B73F9E
	v_mov_b32_e32 v238, v237                                   // 000000007E88: 7FDC03ED
	v_nop                                                      // 000000007E8C: 7E000000
	v_nop                                                      // 000000007E90: 7E000000
	v_mfma_f32_32x32x16_bf16 v[208:223], a[96:99], v[32:35], v[208:223]// 000000007E94: D3B700D0 0F424160
	ds_read_b64_tr_b16 a[192:193], v31 offset:17472            // 000000007E9C: DBC64440 C000001F
	ds_read_b64_tr_b16 a[194:195], v31 offset:17984            // 000000007EA4: DBC64640 C200001F
	ds_read_b64_tr_b16 a[196:197], v31 offset:19648            // 000000007EAC: DBC64CC0 C400001F
	ds_read_b64_tr_b16 a[198:199], v31 offset:20160            // 000000007EB4: DBC64EC0 C600001F
	v_permlane32_swap_b32_e32 v238, v237                       // 000000007EBC: 7FDCB5ED
	v_mfma_f32_32x32x16_bf16 v[208:223], a[100:103], v[36:39], v[208:223]// 000000007EC0: D3B700D0 0F424964
	v_max_f32_e32 v237, v238, v237                             // 000000007EC8: 17DBDBEE
	v_sub_f32_e32 v230, v233, v237                             // 000000007ECC: 05CDDBE9
	v_mov_b32_e32 v233, v237                                   // 000000007ED0: 7FD203ED
	v_mul_f32_e32 v236, s32, v237                              // 000000007ED4: 0BD9DA20
	v_mul_f32_e32 v230, s32, v230                              // 000000007ED8: 0BCDCC20
	v_mfma_f32_32x32x16_bf16 v[208:223], a[104:107], v[40:43], v[208:223]// 000000007EDC: D3B700D0 0F425168
	ds_read_b64_tr_b16 a[200:201], v31 offset:21824            // 000000007EE4: DBC65540 C800001F
	ds_read_b64_tr_b16 a[202:203], v31 offset:22336            // 000000007EEC: DBC65740 CA00001F
	ds_read_b64_tr_b16 a[204:205], v31 offset:24000            // 000000007EF4: DBC65DC0 CC00001F
	ds_read_b64_tr_b16 a[206:207], v31 offset:24512            // 000000007EFC: DBC65FC0 CE00001F
	v_exp_f32_e32 v230, v230                                   // 000000007F04: 7FCC41E6
	v_mfma_f32_32x32x16_bf16 v[208:223], a[108:111], v[44:47], v[208:223]// 000000007F08: D3B700D0 0F42596C
	v_fma_f32 v96, v96, s32, -v236                             // 000000007F10: D1CB0060 87B04160
	v_fma_f32 v97, v97, s32, -v236                             // 000000007F18: D1CB0061 87B04161
	v_fma_f32 v98, v98, s32, -v236                             // 000000007F20: D1CB0062 87B04162
	v_fma_f32 v99, v99, s32, -v236                             // 000000007F28: D1CB0063 87B04163
	v_fma_f32 v100, v100, s32, -v236                           // 000000007F30: D1CB0064 87B04164
	v_fma_f32 v101, v101, s32, -v236                           // 000000007F38: D1CB0065 87B04165
	s_waitcnt vmcnt(10) lgkmcnt(8)                             // 000000007F40: BF8C087A
	s_barrier                                                  // 000000007F44: BF8A0000
	s_mov_b32 m0, s36                                          // 000000007F48: BEFC0024
	v_mfma_f32_32x32x16_bf16 v[160:175], a[144:147], v[48:51], v[160:175]// 000000007F4C: D3B700A0 0E826190
	ds_read_b128 a[48:51], v27                                 // 000000007F54: DBFE0000 3000001B
	ds_read_b128 a[52:55], v27 offset:32                       // 000000007F5C: DBFE0020 3400001B
	ds_read_b128 a[56:59], v27 offset:64                       // 000000007F64: DBFE0040 3800001B
	ds_read_b128 a[60:63], v27 offset:96                       // 000000007F6C: DBFE0060 3C00001B
	v_fma_f32 v102, v102, s32, -v236                           // 000000007F74: D1CB0066 87B04166
	v_fma_f32 v103, v103, s32, -v236                           // 000000007F7C: D1CB0067 87B04167
	v_mfma_f32_32x32x16_bf16 v[160:175], a[148:151], v[52:55], v[160:175]// 000000007F84: D3B700A0 0E826994
	buffer_load_dwordx4 v23, s[16:19], s57 offen lds           // 000000007F8C: E05D1000 39040017
	v_fma_f32 v104, v104, s32, -v236                           // 000000007F94: D1CB0068 87B04168
	v_fma_f32 v105, v105, s32, -v236                           // 000000007F9C: D1CB0069 87B04169
	v_fma_f32 v106, v106, s32, -v236                           // 000000007FA4: D1CB006A 87B0416A
	v_fma_f32 v107, v107, s32, -v236                           // 000000007FAC: D1CB006B 87B0416B
	v_mfma_f32_32x32x16_bf16 v[160:175], a[152:155], v[56:59], v[160:175]// 000000007FB4: D3B700A0 0E827198
	ds_read_b128 a[64:67], v28                                 // 000000007FBC: DBFE0000 4000001C
	ds_read_b128 a[68:71], v28 offset:32                       // 000000007FC4: DBFE0020 4400001C
	ds_read_b128 a[72:75], v28 offset:64                       // 000000007FCC: DBFE0040 4800001C
	ds_read_b128 a[76:79], v28 offset:96                       // 000000007FD4: DBFE0060 4C00001C
	v_fma_f32 v108, v108, s32, -v236                           // 000000007FDC: D1CB006C 87B0416C
	v_fma_f32 v109, v109, s32, -v236                           // 000000007FE4: D1CB006D 87B0416D
	v_mfma_f32_32x32x16_bf16 v[160:175], a[156:159], v[60:63], v[160:175]// 000000007FEC: D3B700A0 0E82799C
	s_add_u32 m0, 0x1100, m0                                   // 000000007FF4: 807C7CFF 00001100
	buffer_load_dwordx4 v24, s[16:19], s57 offen lds           // 000000007FFC: E05D1000 39040018
	s_add_u32 m0, 0x1100, m0                                   // 000000008004: 807C7CFF 00001100
	v_fma_f32 v110, v110, s32, -v236                           // 00000000800C: D1CB006E 87B0416E
	v_fma_f32 v111, v111, s32, -v236                           // 000000008014: D1CB006F 87B0416F
	s_waitcnt lgkmcnt(8)                                       // 00000000801C: BF8CC87F
	s_nop 0                                                    // 000000008020: BF800000
	v_mfma_f32_32x32x16_bf16 v[176:191], a[160:163], v[48:51], v[176:191]// 000000008024: D3B700B0 0EC261A0
	ds_read_b128 a[80:83], v29                                 // 00000000802C: DBFE0000 5000001D
	ds_read_b128 a[84:87], v29 offset:32                       // 000000008034: DBFE0020 5400001D
	ds_read_b128 a[88:91], v29 offset:64                       // 00000000803C: DBFE0040 5800001D
	ds_read_b128 a[92:95], v29 offset:96                       // 000000008044: DBFE0060 5C00001D
	v_fma_f32 v112, v112, s32, -v236                           // 00000000804C: D1CB0070 87B04170
	v_fma_f32 v113, v113, s32, -v236                           // 000000008054: D1CB0071 87B04171
	v_mfma_f32_32x32x16_bf16 v[176:191], a[164:167], v[52:55], v[176:191]// 00000000805C: D3B700B0 0EC269A4
	buffer_load_dwordx4 v25, s[16:19], s57 offen lds           // 000000008064: E05D1000 39040019
	v_fma_f32 v114, v114, s32, -v236                           // 00000000806C: D1CB0072 87B04172
	v_fma_f32 v115, v115, s32, -v236                           // 000000008074: D1CB0073 87B04173
	v_fma_f32 v116, v116, s32, -v236                           // 00000000807C: D1CB0074 87B04174
	v_fma_f32 v117, v117, s32, -v236                           // 000000008084: D1CB0075 87B04175
	v_mfma_f32_32x32x16_bf16 v[176:191], a[168:171], v[56:59], v[176:191]// 00000000808C: D3B700B0 0EC271A8
	ds_read_b128 a[96:99], v27 offset:512                      // 000000008094: DBFE0200 6000001B
	ds_read_b128 a[100:103], v27 offset:544                    // 00000000809C: DBFE0220 6400001B
	ds_read_b128 a[104:107], v27 offset:576                    // 0000000080A4: DBFE0240 6800001B
	ds_read_b128 a[108:111], v27 offset:608                    // 0000000080AC: DBFE0260 6C00001B
	v_fma_f32 v118, v118, s32, -v236                           // 0000000080B4: D1CB0076 87B04176
	v_fma_f32 v119, v119, s32, -v236                           // 0000000080BC: D1CB0077 87B04177
	v_mfma_f32_32x32x16_bf16 v[176:191], a[172:175], v[60:63], v[176:191]// 0000000080C4: D3B700B0 0EC279AC
	s_add_u32 m0, 0x1100, m0                                   // 0000000080CC: 807C7CFF 00001100
	buffer_load_dwordx4 v26, s[16:19], s57 offen lds           // 0000000080D4: E05D1000 3904001A
	s_add_u32 m0, 0x1100, m0                                   // 0000000080DC: 807C7CFF 00001100
	v_fma_f32 v120, v120, s32, -v236                           // 0000000080E4: D1CB0078 87B04178
	v_fma_f32 v121, v121, s32, -v236                           // 0000000080EC: D1CB0079 87B04179
	v_mfma_f32_32x32x16_bf16 v[192:207], a[176:179], v[48:51], v[192:207]// 0000000080F4: D3B700C0 0F0261B0
	ds_read_b128 a[112:115], v28 offset:512                    // 0000000080FC: DBFE0200 7000001C
	ds_read_b128 a[116:119], v28 offset:544                    // 000000008104: DBFE0220 7400001C
	ds_read_b128 a[120:123], v28 offset:576                    // 00000000810C: DBFE0240 7800001C
	ds_read_b128 a[124:127], v28 offset:608                    // 000000008114: DBFE0260 7C00001C
	v_fma_f32 v122, v122, s32, -v236                           // 00000000811C: D1CB007A 87B0417A
	v_fma_f32 v123, v123, s32, -v236                           // 000000008124: D1CB007B 87B0417B
	v_mfma_f32_32x32x16_bf16 v[192:207], a[180:183], v[52:55], v[192:207]// 00000000812C: D3B700C0 0F0269B4
	v_fma_f32 v124, v124, s32, -v236                           // 000000008134: D1CB007C 87B0417C
	v_fma_f32 v125, v125, s32, -v236                           // 00000000813C: D1CB007D 87B0417D
	v_fma_f32 v126, v126, s32, -v236                           // 000000008144: D1CB007E 87B0417E
	v_fma_f32 v127, v127, s32, -v236                           // 00000000814C: D1CB007F 87B0417F
	v_fma_f32 v128, v128, s32, -v236                           // 000000008154: D1CB0080 87B04180
	v_fma_f32 v129, v129, s32, -v236                           // 00000000815C: D1CB0081 87B04181
	v_mfma_f32_32x32x16_bf16 v[192:207], a[184:187], v[56:59], v[192:207]// 000000008164: D3B700C0 0F0271B8
	ds_read_b128 a[128:131], v29 offset:512                    // 00000000816C: DBFE0200 8000001D
	ds_read_b128 a[132:135], v29 offset:544                    // 000000008174: DBFE0220 8400001D
	ds_read_b128 a[136:139], v29 offset:576                    // 00000000817C: DBFE0240 8800001D
	ds_read_b128 a[140:143], v29 offset:608                    // 000000008184: DBFE0260 8C00001D
	v_fma_f32 v130, v130, s32, -v236                           // 00000000818C: D1CB0082 87B04182
	v_fma_f32 v131, v131, s32, -v236                           // 000000008194: D1CB0083 87B04183
	v_mfma_f32_32x32x16_bf16 v[192:207], a[188:191], v[60:63], v[192:207]// 00000000819C: D3B700C0 0F0279BC
	v_fma_f32 v132, v132, s32, -v236                           // 0000000081A4: D1CB0084 87B04184
	v_fma_f32 v133, v133, s32, -v236                           // 0000000081AC: D1CB0085 87B04185
	v_fma_f32 v134, v134, s32, -v236                           // 0000000081B4: D1CB0086 87B04186
	v_fma_f32 v135, v135, s32, -v236                           // 0000000081BC: D1CB0087 87B04187
	v_fma_f32 v136, v136, s32, -v236                           // 0000000081C4: D1CB0088 87B04188
	v_fma_f32 v137, v137, s32, -v236                           // 0000000081CC: D1CB0089 87B04189
	v_mfma_f32_32x32x16_bf16 v[208:223], a[192:195], v[48:51], v[208:223]// 0000000081D4: D3B700D0 0F4261C0
	v_fma_f32 v138, v138, s32, -v236                           // 0000000081DC: D1CB008A 87B0418A
	v_fma_f32 v139, v139, s32, -v236                           // 0000000081E4: D1CB008B 87B0418B
	v_fma_f32 v140, v140, s32, -v236                           // 0000000081EC: D1CB008C 87B0418C
	v_fma_f32 v141, v141, s32, -v236                           // 0000000081F4: D1CB008D 87B0418D
	v_fma_f32 v142, v142, s32, -v236                           // 0000000081FC: D1CB008E 87B0418E
	v_fma_f32 v143, v143, s32, -v236                           // 000000008204: D1CB008F 87B0418F
	v_mfma_f32_32x32x16_bf16 v[208:223], a[196:199], v[52:55], v[208:223]// 00000000820C: D3B700D0 0F4269C4
	v_fma_f32 v144, v144, s32, -v236                           // 000000008214: D1CB0090 87B04190
	v_fma_f32 v145, v145, s32, -v236                           // 00000000821C: D1CB0091 87B04191
	v_fma_f32 v146, v146, s32, -v236                           // 000000008224: D1CB0092 87B04192
	v_fma_f32 v147, v147, s32, -v236                           // 00000000822C: D1CB0093 87B04193
	v_fma_f32 v148, v148, s32, -v236                           // 000000008234: D1CB0094 87B04194
	v_fma_f32 v149, v149, s32, -v236                           // 00000000823C: D1CB0095 87B04195
	v_mfma_f32_32x32x16_bf16 v[208:223], a[200:203], v[56:59], v[208:223]// 000000008244: D3B700D0 0F4271C8
	v_fma_f32 v150, v150, s32, -v236                           // 00000000824C: D1CB0096 87B04196
	v_fma_f32 v151, v151, s32, -v236                           // 000000008254: D1CB0097 87B04197
	v_fma_f32 v152, v152, s32, -v236                           // 00000000825C: D1CB0098 87B04198
	v_fma_f32 v153, v153, s32, -v236                           // 000000008264: D1CB0099 87B04199
	v_fma_f32 v154, v154, s32, -v236                           // 00000000826C: D1CB009A 87B0419A
	v_fma_f32 v155, v155, s32, -v236                           // 000000008274: D1CB009B 87B0419B
	s_add_i32 s57, s59, s57                                    // 00000000827C: 8139393B
	v_fma_f32 v156, v156, s32, -v236                           // 000000008280: D1CB009C 87B0419C
	v_fma_f32 v157, v157, s32, -v236                           // 000000008288: D1CB009D 87B0419D
	v_fma_f32 v158, v158, s32, -v236                           // 000000008290: D1CB009E 87B0419E
	v_fma_f32 v159, v159, s32, -v236                           // 000000008298: D1CB009F 87B0419F
	v_exp_f32_e32 v96, v96                                     // 0000000082A0: 7EC04160
	s_addk_i32 s61, 0x80                                       // 0000000082A4: B73D0080
	s_add_i32 s62, s62, s63                                    // 0000000082A8: 813E3F3E
	s_cmp_lt_i32 s61, s60                                      // 0000000082AC: BF043C3D
	s_nop 0                                                    // 0000000082B0: BF800000
	v_mfma_f32_32x32x16_bf16 v[208:223], a[204:207], v[60:63], v[208:223]// 0000000082B4: D3B700D0 0F4279CC
	s_cbranch_scc0 label_18B2                                  // 0000000082BC: BF8404C2
	s_waitcnt vmcnt(8) lgkmcnt(0)                              // 0000000082C0: BF8C0078
	s_barrier                                                  // 0000000082C4: BF8A0000
	s_mov_b32 m0, s33                                          // 0000000082C8: BEFC0021
	v_mfma_f32_32x32x16_bf16 v[32:47], a[48:51], a[0:3], 0     // 0000000082CC: D3B70020 1A020130
	ds_read_b128 a[144:147], v27 offset:24960                  // 0000000082D4: DBFE6180 9000001B
	ds_read_b128 a[148:151], v27 offset:24992                  // 0000000082DC: DBFE61A0 9400001B
	ds_read_b128 a[152:155], v27 offset:25024                  // 0000000082E4: DBFE61C0 9800001B
	ds_read_b128 a[156:159], v27 offset:25056                  // 0000000082EC: DBFE61E0 9C00001B
	v_exp_f32_e32 v97, v97                                     // 0000000082F4: 7EC24161
	v_mfma_f32_32x32x16_bf16 v[32:47], a[52:55], a[4:7], v[32:47]// 0000000082F8: D3B70020 1C820934
	buffer_load_dwordx4 v7, s[12:15], s56 offen lds            // 000000008300: E05D1000 38030007
	v_exp_f32_e32 v98, v98                                     // 000000008308: 7EC44162
	v_exp_f32_e32 v99, v99                                     // 00000000830C: 7EC64163
	v_mfma_f32_32x32x16_bf16 v[32:47], a[56:59], a[8:11], v[32:47]// 000000008310: D3B70020 1C821138
	ds_read_b128 a[160:163], v28 offset:24960                  // 000000008318: DBFE6180 A000001C
	ds_read_b128 a[164:167], v28 offset:24992                  // 000000008320: DBFE61A0 A400001C
	ds_read_b128 a[168:171], v28 offset:25024                  // 000000008328: DBFE61C0 A800001C
	ds_read_b128 a[172:175], v28 offset:25056                  // 000000008330: DBFE61E0 AC00001C
	v_exp_f32_e32 v100, v100                                   // 000000008338: 7EC84164
	v_mfma_f32_32x32x16_bf16 v[32:47], a[60:63], a[12:15], v[32:47]// 00000000833C: D3B70020 1C82193C
	s_add_u32 m0, 0x1040, m0                                   // 000000008344: 807C7CFF 00001040
	buffer_load_dwordx4 v8, s[12:15], s56 offen lds            // 00000000834C: E05D1000 38030008
	s_add_u32 m0, 0x1040, m0                                   // 000000008354: 807C7CFF 00001040
	v_exp_f32_e32 v101, v101                                   // 00000000835C: 7ECA4165
	v_mfma_f32_32x32x16_bf16 v[32:47], a[64:67], a[16:19], v[32:47]// 000000008360: D3B70020 1C822140
	ds_read_b128 a[176:179], v29 offset:24960                  // 000000008368: DBFE6180 B000001D
	ds_read_b128 a[180:183], v29 offset:24992                  // 000000008370: DBFE61A0 B400001D
	ds_read_b128 a[184:187], v29 offset:25024                  // 000000008378: DBFE61C0 B800001D
	ds_read_b128 a[188:191], v29 offset:25056                  // 000000008380: DBFE61E0 BC00001D
	v_exp_f32_e32 v102, v102                                   // 000000008388: 7ECC4166
	v_mfma_f32_32x32x16_bf16 v[32:47], a[68:71], a[20:23], v[32:47]// 00000000838C: D3B70020 1C822944
	buffer_load_dwordx4 v9, s[12:15], s56 offen lds            // 000000008394: E05D1000 38030009
	v_exp_f32_e32 v103, v103                                   // 00000000839C: 7ECE4167
	v_exp_f32_e32 v104, v104                                   // 0000000083A0: 7ED04168
	v_mfma_f32_32x32x16_bf16 v[32:47], a[72:75], a[24:27], v[32:47]// 0000000083A4: D3B70020 1C823148
	ds_read_b128 a[192:195], v27 offset:25472                  // 0000000083AC: DBFE6380 C000001B
	ds_read_b128 a[196:199], v27 offset:25504                  // 0000000083B4: DBFE63A0 C400001B
	ds_read_b128 a[200:203], v27 offset:25536                  // 0000000083BC: DBFE63C0 C800001B
	ds_read_b128 a[204:207], v27 offset:25568                  // 0000000083C4: DBFE63E0 CC00001B
	v_exp_f32_e32 v105, v105                                   // 0000000083CC: 7ED24169
	v_mfma_f32_32x32x16_bf16 v[32:47], a[76:79], a[28:31], v[32:47]// 0000000083D0: D3B70020 1C82394C
	s_add_u32 m0, 0x1040, m0                                   // 0000000083D8: 807C7CFF 00001040
	buffer_load_dwordx4 v10, s[12:15], s56 offen lds           // 0000000083E0: E05D1000 3803000A
	s_add_u32 m0, 0x1040, m0                                   // 0000000083E8: 807C7CFF 00001040
	v_exp_f32_e32 v106, v106                                   // 0000000083F0: 7ED4416A
	v_mfma_f32_32x32x16_bf16 v[32:47], a[80:83], a[32:35], v[32:47]// 0000000083F4: D3B70020 1C824150
	ds_read_b128 a[208:211], v28 offset:25472                  // 0000000083FC: DBFE6380 D000001C
	ds_read_b128 a[212:215], v28 offset:25504                  // 000000008404: DBFE63A0 D400001C
	ds_read_b128 a[216:219], v28 offset:25536                  // 00000000840C: DBFE63C0 D800001C
	ds_read_b128 a[220:223], v28 offset:25568                  // 000000008414: DBFE63E0 DC00001C
	v_exp_f32_e32 v107, v107                                   // 00000000841C: 7ED6416B
	v_mfma_f32_32x32x16_bf16 v[32:47], a[84:87], a[36:39], v[32:47]// 000000008420: D3B70020 1C824954
	buffer_load_dwordx4 v11, s[12:15], s56 offen lds           // 000000008428: E05D1000 3803000B
	v_exp_f32_e32 v108, v108                                   // 000000008430: 7ED8416C
	v_exp_f32_e32 v109, v109                                   // 000000008434: 7EDA416D
	v_mfma_f32_32x32x16_bf16 v[32:47], a[88:91], a[40:43], v[32:47]// 000000008438: D3B70020 1C825158
	ds_read_b128 a[224:227], v29 offset:25472                  // 000000008440: DBFE6380 E000001D
	ds_read_b128 a[228:231], v29 offset:25504                  // 000000008448: DBFE63A0 E400001D
	ds_read_b128 a[232:235], v29 offset:25536                  // 000000008450: DBFE63C0 E800001D
	ds_read_b128 a[236:239], v29 offset:25568                  // 000000008458: DBFE63E0 EC00001D
	v_exp_f32_e32 v110, v110                                   // 000000008460: 7EDC416E
	v_mfma_f32_32x32x16_bf16 v[32:47], a[92:95], a[44:47], v[32:47]// 000000008464: D3B70020 1C82595C
	s_add_u32 m0, 0x1040, m0                                   // 00000000846C: 807C7CFF 00001040
	buffer_load_dwordx4 v12, s[12:15], s56 offen lds           // 000000008474: E05D1000 3803000C
	s_add_u32 m0, 0x1040, m0                                   // 00000000847C: 807C7CFF 00001040
	v_exp_f32_e32 v111, v111                                   // 000000008484: 7EDE416F
	v_mfma_f32_32x32x16_bf16 v[48:63], a[96:99], a[0:3], 0     // 000000008488: D3B70030 1A020160
	v_exp_f32_e32 v112, v112                                   // 000000008490: 7EE04170
	v_exp_f32_e32 v113, v113                                   // 000000008494: 7EE24171
	v_exp_f32_e32 v114, v114                                   // 000000008498: 7EE44172
	v_mfma_f32_32x32x16_bf16 v[48:63], a[100:103], a[4:7], v[48:63]// 00000000849C: D3B70030 1CC20964
	v_exp_f32_e32 v115, v115                                   // 0000000084A4: 7EE64173
	v_exp_f32_e32 v116, v116                                   // 0000000084A8: 7EE84174
	v_exp_f32_e32 v117, v117                                   // 0000000084AC: 7EEA4175
	v_mfma_f32_32x32x16_bf16 v[48:63], a[104:107], a[8:11], v[48:63]// 0000000084B0: D3B70030 1CC21168
	v_exp_f32_e32 v118, v118                                   // 0000000084B8: 7EEC4176
	v_exp_f32_e32 v119, v119                                   // 0000000084BC: 7EEE4177
	v_exp_f32_e32 v120, v120                                   // 0000000084C0: 7EF04178
	v_mfma_f32_32x32x16_bf16 v[48:63], a[108:111], a[12:15], v[48:63]// 0000000084C4: D3B70030 1CC2196C
	v_exp_f32_e32 v121, v121                                   // 0000000084CC: 7EF24179
	v_exp_f32_e32 v122, v122                                   // 0000000084D0: 7EF4417A
	v_exp_f32_e32 v123, v123                                   // 0000000084D4: 7EF6417B
	v_mfma_f32_32x32x16_bf16 v[48:63], a[112:115], a[16:19], v[48:63]// 0000000084D8: D3B70030 1CC22170
	v_exp_f32_e32 v124, v124                                   // 0000000084E0: 7EF8417C
	v_exp_f32_e32 v125, v125                                   // 0000000084E4: 7EFA417D
	v_exp_f32_e32 v126, v126                                   // 0000000084E8: 7EFC417E
	v_mfma_f32_32x32x16_bf16 v[48:63], a[116:119], a[20:23], v[48:63]// 0000000084EC: D3B70030 1CC22974
	v_exp_f32_e32 v127, v127                                   // 0000000084F4: 7EFE417F
	v_exp_f32_e32 v128, v128                                   // 0000000084F8: 7F004180
	v_exp_f32_e32 v129, v129                                   // 0000000084FC: 7F024181
	v_mfma_f32_32x32x16_bf16 v[48:63], a[120:123], a[24:27], v[48:63]// 000000008500: D3B70030 1CC23178
	v_exp_f32_e32 v130, v130                                   // 000000008508: 7F044182
	v_exp_f32_e32 v131, v131                                   // 00000000850C: 7F064183
	v_exp_f32_e32 v132, v132                                   // 000000008510: 7F084184
	v_mfma_f32_32x32x16_bf16 v[48:63], a[124:127], a[28:31], v[48:63]// 000000008514: D3B70030 1CC2397C
	v_exp_f32_e32 v133, v133                                   // 00000000851C: 7F0A4185
	v_exp_f32_e32 v134, v134                                   // 000000008520: 7F0C4186
	v_exp_f32_e32 v135, v135                                   // 000000008524: 7F0E4187
	v_mfma_f32_32x32x16_bf16 v[48:63], a[128:131], a[32:35], v[48:63]// 000000008528: D3B70030 1CC24180
	v_exp_f32_e32 v136, v136                                   // 000000008530: 7F104188
	v_exp_f32_e32 v137, v137                                   // 000000008534: 7F124189
	v_exp_f32_e32 v138, v138                                   // 000000008538: 7F14418A
	v_mfma_f32_32x32x16_bf16 v[48:63], a[132:135], a[36:39], v[48:63]// 00000000853C: D3B70030 1CC24984
	v_exp_f32_e32 v139, v139                                   // 000000008544: 7F16418B
	v_exp_f32_e32 v140, v140                                   // 000000008548: 7F18418C
	v_exp_f32_e32 v141, v141                                   // 00000000854C: 7F1A418D
	v_mfma_f32_32x32x16_bf16 v[48:63], a[136:139], a[40:43], v[48:63]// 000000008550: D3B70030 1CC25188
	v_exp_f32_e32 v142, v142                                   // 000000008558: 7F1C418E
	v_exp_f32_e32 v143, v143                                   // 00000000855C: 7F1E418F
	v_exp_f32_e32 v144, v144                                   // 000000008560: 7F204190
	v_mfma_f32_32x32x16_bf16 v[48:63], a[140:143], a[44:47], v[48:63]// 000000008564: D3B70030 1CC2598C
	v_exp_f32_e32 v145, v145                                   // 00000000856C: 7F224191
	v_exp_f32_e32 v146, v146                                   // 000000008570: 7F244192
	v_exp_f32_e32 v147, v147                                   // 000000008574: 7F264193
	s_waitcnt vmcnt(10) lgkmcnt(0)                             // 000000008578: BF8C007A
	s_barrier                                                  // 00000000857C: BF8A0000
	s_mov_b32 m0, s34                                          // 000000008580: BEFC0022
	v_mfma_f32_32x32x16_bf16 v[64:79], a[144:147], a[0:3], 0   // 000000008584: D3B70040 1A020190
	ds_read_b64_tr_b16 a[48:49], v30                           // 00000000858C: DBC60000 3000001E
	ds_read_b64_tr_b16 a[50:51], v30 offset:512                // 000000008594: DBC60200 3200001E
	ds_read_b64_tr_b16 a[52:53], v30 offset:2176               // 00000000859C: DBC60880 3400001E
	ds_read_b64_tr_b16 a[54:55], v30 offset:2688               // 0000000085A4: DBC60A80 3600001E
	v_exp_f32_e32 v148, v148                                   // 0000000085AC: 7F284194
	v_mfma_f32_32x32x16_bf16 v[64:79], a[148:151], a[4:7], v[64:79]// 0000000085B0: D3B70040 1D020994
	buffer_load_dwordx4 v13, s[12:15], s56 offen lds           // 0000000085B8: E05D1000 3803000D
	v_exp_f32_e32 v149, v149                                   // 0000000085C0: 7F2A4195
	v_exp_f32_e32 v150, v150                                   // 0000000085C4: 7F2C4196
	v_mfma_f32_32x32x16_bf16 v[64:79], a[152:155], a[8:11], v[64:79]// 0000000085C8: D3B70040 1D021198
	ds_read_b64_tr_b16 a[56:57], v30 offset:4352               // 0000000085D0: DBC61100 3800001E
	ds_read_b64_tr_b16 a[58:59], v30 offset:4864               // 0000000085D8: DBC61300 3A00001E
	ds_read_b64_tr_b16 a[60:61], v30 offset:6528               // 0000000085E0: DBC61980 3C00001E
	ds_read_b64_tr_b16 a[62:63], v30 offset:7040               // 0000000085E8: DBC61B80 3E00001E
	v_exp_f32_e32 v151, v151                                   // 0000000085F0: 7F2E4197
	v_mfma_f32_32x32x16_bf16 v[64:79], a[156:159], a[12:15], v[64:79]// 0000000085F4: D3B70040 1D02199C
	s_add_u32 m0, 0x1040, m0                                   // 0000000085FC: 807C7CFF 00001040
	buffer_load_dwordx4 v14, s[12:15], s56 offen lds           // 000000008604: E05D1000 3803000E
	s_add_u32 m0, 0x1040, m0                                   // 00000000860C: 807C7CFF 00001040
	v_exp_f32_e32 v152, v152                                   // 000000008614: 7F304198
	v_mfma_f32_32x32x16_bf16 v[64:79], a[160:163], a[16:19], v[64:79]// 000000008618: D3B70040 1D0221A0
	ds_read_b64_tr_b16 a[64:65], v30 offset:64                 // 000000008620: DBC60040 4000001E
	ds_read_b64_tr_b16 a[66:67], v30 offset:576                // 000000008628: DBC60240 4200001E
	ds_read_b64_tr_b16 a[68:69], v30 offset:2240               // 000000008630: DBC608C0 4400001E
	ds_read_b64_tr_b16 a[70:71], v30 offset:2752               // 000000008638: DBC60AC0 4600001E
	v_exp_f32_e32 v153, v153                                   // 000000008640: 7F324199
	v_mfma_f32_32x32x16_bf16 v[64:79], a[164:167], a[20:23], v[64:79]// 000000008644: D3B70040 1D0229A4
	buffer_load_dwordx4 v15, s[12:15], s56 offen lds           // 00000000864C: E05D1000 3803000F
	v_exp_f32_e32 v154, v154                                   // 000000008654: 7F34419A
	v_exp_f32_e32 v155, v155                                   // 000000008658: 7F36419B
	v_mfma_f32_32x32x16_bf16 v[64:79], a[168:171], a[24:27], v[64:79]// 00000000865C: D3B70040 1D0231A8
	ds_read_b64_tr_b16 a[72:73], v30 offset:4416               // 000000008664: DBC61140 4800001E
	ds_read_b64_tr_b16 a[74:75], v30 offset:4928               // 00000000866C: DBC61340 4A00001E
	ds_read_b64_tr_b16 a[76:77], v30 offset:6592               // 000000008674: DBC619C0 4C00001E
	ds_read_b64_tr_b16 a[78:79], v30 offset:7104               // 00000000867C: DBC61BC0 4E00001E
	v_exp_f32_e32 v156, v156                                   // 000000008684: 7F38419C
	v_mfma_f32_32x32x16_bf16 v[64:79], a[172:175], a[28:31], v[64:79]// 000000008688: D3B70040 1D0239AC
	s_add_u32 m0, 0x1040, m0                                   // 000000008690: 807C7CFF 00001040
	buffer_load_dwordx4 v16, s[12:15], s56 offen lds           // 000000008698: E05D1000 38030010
	s_add_u32 m0, 0x1040, m0                                   // 0000000086A0: 807C7CFF 00001040
	v_exp_f32_e32 v157, v157                                   // 0000000086A8: 7F3A419D
	v_mfma_f32_32x32x16_bf16 v[64:79], a[176:179], a[32:35], v[64:79]// 0000000086AC: D3B70040 1D0241B0
	ds_read_b64_tr_b16 a[80:81], v31                           // 0000000086B4: DBC60000 5000001F
	ds_read_b64_tr_b16 a[82:83], v31 offset:512                // 0000000086BC: DBC60200 5200001F
	ds_read_b64_tr_b16 a[84:85], v31 offset:2176               // 0000000086C4: DBC60880 5400001F
	ds_read_b64_tr_b16 a[86:87], v31 offset:2688               // 0000000086CC: DBC60A80 5600001F
	v_exp_f32_e32 v158, v158                                   // 0000000086D4: 7F3C419E
	v_mfma_f32_32x32x16_bf16 v[64:79], a[180:183], a[36:39], v[64:79]// 0000000086D8: D3B70040 1D0249B4
	buffer_load_dwordx4 v17, s[12:15], s56 offen lds           // 0000000086E0: E05D1000 38030011
	v_exp_f32_e32 v159, v159                                   // 0000000086E8: 7F3E419F
	v_mul_f32_e32 v232, v230, v232                             // 0000000086EC: 0BD1D1E6
	v_add_f32_e32 v234, v97, v96                               // 0000000086F0: 03D4C161
	v_mfma_f32_32x32x16_bf16 v[64:79], a[184:187], a[40:43], v[64:79]// 0000000086F4: D3B70040 1D0251B8
	ds_read_b64_tr_b16 a[88:89], v31 offset:4352               // 0000000086FC: DBC61100 5800001F
	ds_read_b64_tr_b16 a[90:91], v31 offset:4864               // 000000008704: DBC61300 5A00001F
	ds_read_b64_tr_b16 a[92:93], v31 offset:6528               // 00000000870C: DBC61980 5C00001F
	ds_read_b64_tr_b16 a[94:95], v31 offset:7040               // 000000008714: DBC61B80 5E00001F
	v_add_f32_e32 v234, v98, v234                              // 00000000871C: 03D5D562
	v_add_f32_e32 v234, v99, v234                              // 000000008720: 03D5D563
	v_mfma_f32_32x32x16_bf16 v[64:79], a[188:191], a[44:47], v[64:79]// 000000008724: D3B70040 1D0259BC
	s_add_u32 m0, 0x1040, m0                                   // 00000000872C: 807C7CFF 00001040
	buffer_load_dwordx4 v18, s[12:15], s56 offen lds           // 000000008734: E05D1000 38030012
	s_add_u32 m0, 0x1040, m0                                   // 00000000873C: 807C7CFF 00001040
	v_add_f32_e32 v234, v100, v234                             // 000000008744: 03D5D564
	v_add_f32_e32 v234, v101, v234                             // 000000008748: 03D5D565
	v_mfma_f32_32x32x16_bf16 v[80:95], a[192:195], a[0:3], 0   // 00000000874C: D3B70050 1A0201C0
	ds_read_b64_tr_b16 a[96:97], v31 offset:64                 // 000000008754: DBC60040 6000001F
	ds_read_b64_tr_b16 a[98:99], v31 offset:576                // 00000000875C: DBC60240 6200001F
	ds_read_b64_tr_b16 a[100:101], v31 offset:2240             // 000000008764: DBC608C0 6400001F
	ds_read_b64_tr_b16 a[102:103], v31 offset:2752             // 00000000876C: DBC60AC0 6600001F
	v_add_f32_e32 v234, v102, v234                             // 000000008774: 03D5D566
	v_add_f32_e32 v234, v103, v234                             // 000000008778: 03D5D567
	v_mfma_f32_32x32x16_bf16 v[80:95], a[196:199], a[4:7], v[80:95]// 00000000877C: D3B70050 1D4209C4
	v_add_f32_e32 v234, v104, v234                             // 000000008784: 03D5D568
	v_add_f32_e32 v234, v105, v234                             // 000000008788: 03D5D569
	v_add_f32_e32 v234, v106, v234                             // 00000000878C: 03D5D56A
	v_add_f32_e32 v234, v107, v234                             // 000000008790: 03D5D56B
	v_add_f32_e32 v234, v108, v234                             // 000000008794: 03D5D56C
	v_add_f32_e32 v234, v109, v234                             // 000000008798: 03D5D56D
	v_mfma_f32_32x32x16_bf16 v[80:95], a[200:203], a[8:11], v[80:95]// 00000000879C: D3B70050 1D4211C8
	ds_read_b64_tr_b16 a[104:105], v31 offset:4416             // 0000000087A4: DBC61140 6800001F
	ds_read_b64_tr_b16 a[106:107], v31 offset:4928             // 0000000087AC: DBC61340 6A00001F
	ds_read_b64_tr_b16 a[108:109], v31 offset:6592             // 0000000087B4: DBC619C0 6C00001F
	ds_read_b64_tr_b16 a[110:111], v31 offset:7104             // 0000000087BC: DBC61BC0 6E00001F
	v_add_f32_e32 v234, v110, v234                             // 0000000087C4: 03D5D56E
	v_add_f32_e32 v234, v111, v234                             // 0000000087C8: 03D5D56F
	v_mfma_f32_32x32x16_bf16 v[80:95], a[204:207], a[12:15], v[80:95]// 0000000087CC: D3B70050 1D4219CC
	v_add_f32_e32 v234, v112, v234                             // 0000000087D4: 03D5D570
	v_add_f32_e32 v234, v113, v234                             // 0000000087D8: 03D5D571
	v_add_f32_e32 v234, v114, v234                             // 0000000087DC: 03D5D572
	v_add_f32_e32 v234, v115, v234                             // 0000000087E0: 03D5D573
	v_add_f32_e32 v234, v116, v234                             // 0000000087E4: 03D5D574
	v_add_f32_e32 v234, v117, v234                             // 0000000087E8: 03D5D575
	v_mfma_f32_32x32x16_bf16 v[80:95], a[208:211], a[16:19], v[80:95]// 0000000087EC: D3B70050 1D4221D0
	v_add_f32_e32 v234, v118, v234                             // 0000000087F4: 03D5D576
	v_add_f32_e32 v234, v119, v234                             // 0000000087F8: 03D5D577
	v_add_f32_e32 v234, v120, v234                             // 0000000087FC: 03D5D578
	v_add_f32_e32 v234, v121, v234                             // 000000008800: 03D5D579
	v_add_f32_e32 v234, v122, v234                             // 000000008804: 03D5D57A
	v_add_f32_e32 v234, v123, v234                             // 000000008808: 03D5D57B
	v_mfma_f32_32x32x16_bf16 v[80:95], a[212:215], a[20:23], v[80:95]// 00000000880C: D3B70050 1D4229D4
	v_add_f32_e32 v234, v124, v234                             // 000000008814: 03D5D57C
	v_add_f32_e32 v234, v125, v234                             // 000000008818: 03D5D57D
	v_add_f32_e32 v234, v126, v234                             // 00000000881C: 03D5D57E
	v_add_f32_e32 v234, v127, v234                             // 000000008820: 03D5D57F
	v_nop                                                      // 000000008824: 7E000000
	v_cvt_pk_bf16_f32 v96, v96, v97                            // 000000008828: D2680060 0002C360
	v_mfma_f32_32x32x16_bf16 v[80:95], a[216:219], a[24:27], v[80:95]// 000000008830: D3B70050 1D4231D8
	v_cvt_pk_bf16_f32 v97, v98, v99                            // 000000008838: D2680061 0002C762
	v_cvt_pk_bf16_f32 v98, v100, v101                          // 000000008840: D2680062 0002CB64
	v_cvt_pk_bf16_f32 v99, v102, v103                          // 000000008848: D2680063 0002CF66
	v_cvt_pk_bf16_f32 v100, v104, v105                         // 000000008850: D2680064 0002D368
	v_cvt_pk_bf16_f32 v101, v106, v107                         // 000000008858: D2680065 0002D76A
	v_cvt_pk_bf16_f32 v102, v108, v109                         // 000000008860: D2680066 0002DB6C
	v_mfma_f32_32x32x16_bf16 v[80:95], a[220:223], a[28:31], v[80:95]// 000000008868: D3B70050 1D4239DC
	v_cvt_pk_bf16_f32 v103, v110, v111                         // 000000008870: D2680067 0002DF6E
	v_cvt_pk_bf16_f32 v104, v112, v113                         // 000000008878: D2680068 0002E370
	v_cvt_pk_bf16_f32 v105, v114, v115                         // 000000008880: D2680069 0002E772
	v_cvt_pk_bf16_f32 v106, v116, v117                         // 000000008888: D268006A 0002EB74
	v_cvt_pk_bf16_f32 v107, v118, v119                         // 000000008890: D268006B 0002EF76
	v_cvt_pk_bf16_f32 v108, v120, v121                         // 000000008898: D268006C 0002F378
	v_mfma_f32_32x32x16_bf16 v[80:95], a[224:227], a[32:35], v[80:95]// 0000000088A0: D3B70050 1D4241E0
	v_cvt_pk_bf16_f32 v109, v122, v123                         // 0000000088A8: D268006D 0002F77A
	v_cvt_pk_bf16_f32 v110, v124, v125                         // 0000000088B0: D268006E 0002FB7C
	v_cvt_pk_bf16_f32 v111, v126, v127                         // 0000000088B8: D268006F 0002FF7E
	v_nop                                                      // 0000000088C0: 7E000000
	v_mov_b32_e32 v235, 0                                      // 0000000088C4: 7FD60280
	v_pk_add_f32 v[234:235], v[128:129], v[234:235]            // 0000000088C8: D3B240EA 1803D580
	v_pk_add_f32 v[234:235], v[130:131], v[234:235]            // 0000000088D0: D3B240EA 1803D582
	v_pk_add_f32 v[234:235], v[132:133], v[234:235]            // 0000000088D8: D3B240EA 1803D584
	v_pk_add_f32 v[234:235], v[134:135], v[234:235]            // 0000000088E0: D3B240EA 1803D586
	v_pk_add_f32 v[234:235], v[136:137], v[234:235]            // 0000000088E8: D3B240EA 1803D588
	v_pk_add_f32 v[234:235], v[138:139], v[234:235]            // 0000000088F0: D3B240EA 1803D58A
	v_pk_add_f32 v[234:235], v[140:141], v[234:235]            // 0000000088F8: D3B240EA 1803D58C
	v_pk_add_f32 v[234:235], v[142:143], v[234:235]            // 000000008900: D3B240EA 1803D58E
	v_pk_add_f32 v[234:235], v[144:145], v[234:235]            // 000000008908: D3B240EA 1803D590
	v_pk_add_f32 v[234:235], v[146:147], v[234:235]            // 000000008910: D3B240EA 1803D592
	v_pk_add_f32 v[234:235], v[148:149], v[234:235]            // 000000008918: D3B240EA 1803D594
	v_pk_add_f32 v[234:235], v[150:151], v[234:235]            // 000000008920: D3B240EA 1803D596
	v_pk_add_f32 v[234:235], v[152:153], v[234:235]            // 000000008928: D3B240EA 1803D598
	v_pk_add_f32 v[234:235], v[154:155], v[234:235]            // 000000008930: D3B240EA 1803D59A
	v_pk_add_f32 v[234:235], v[156:157], v[234:235]            // 000000008938: D3B240EA 1803D59C
	v_pk_add_f32 v[234:235], v[158:159], v[234:235]            // 000000008940: D3B240EA 1803D59E
	v_add_f32_e32 v234, v234, v235                             // 000000008948: 03D5D7EA
	v_mfma_f32_32x32x16_bf16 v[80:95], a[228:231], a[36:39], v[80:95]// 00000000894C: D3B70050 1D4249E4
	v_mov_b32_e32 v238, v234                                   // 000000008954: 7FDC03EA
	v_mul_f32_e32 v160, v230, v160                             // 000000008958: 0B4141E6
	v_mul_f32_e32 v161, v230, v161                             // 00000000895C: 0B4343E6
	v_permlane32_swap_b32_e32 v238, v234                       // 000000008960: 7FDCB5EA
	v_add_f32_e32 v238, v238, v234                             // 000000008964: 03DDD5EE
	v_mfma_f32_32x32x16_bf16 v[80:95], a[232:235], a[40:43], v[80:95]// 000000008968: D3B70050 1D4251E8
	v_add_f32_e32 v232, v238, v232                             // 000000008970: 03D1D1EE
	v_mov_b32_e32 v231, v230                                   // 000000008974: 7FCE03E6
	v_cvt_pk_bf16_f32 v112, v128, v129                         // 000000008978: D2680070 00030380
	v_cvt_pk_bf16_f32 v113, v130, v131                         // 000000008980: D2680071 00030782
	v_cvt_pk_bf16_f32 v114, v132, v133                         // 000000008988: D2680072 00030B84
	v_cvt_pk_bf16_f32 v115, v134, v135                         // 000000008990: D2680073 00030F86
	s_add_i32 s56, s58, s56                                    // 000000008998: 8138383A
	s_nop 0                                                    // 00000000899C: BF800000
	v_cvt_pk_bf16_f32 v116, v136, v137                         // 0000000089A0: D2680074 00031388
	v_cvt_pk_bf16_f32 v117, v138, v139                         // 0000000089A8: D2680075 0003178A
	v_cvt_pk_bf16_f32 v118, v140, v141                         // 0000000089B0: D2680076 00031B8C
	v_cvt_pk_bf16_f32 v119, v142, v143                         // 0000000089B8: D2680077 00031F8E
	v_cvt_pk_bf16_f32 v120, v144, v145                         // 0000000089C0: D2680078 00032390
	v_cvt_pk_bf16_f32 v121, v146, v147                         // 0000000089C8: D2680079 00032792
	v_cvt_pk_bf16_f32 v122, v148, v149                         // 0000000089D0: D268007A 00032B94
	v_cvt_pk_bf16_f32 v123, v150, v151                         // 0000000089D8: D268007B 00032F96
	v_cvt_pk_bf16_f32 v124, v152, v153                         // 0000000089E0: D268007C 00033398
	v_cvt_pk_bf16_f32 v125, v154, v155                         // 0000000089E8: D268007D 0003379A
	v_cvt_pk_bf16_f32 v126, v156, v157                         // 0000000089F0: D268007E 00033B9C
	v_cvt_pk_bf16_f32 v127, v158, v159                         // 0000000089F8: D268007F 00033F9E
	v_pk_mul_f32 v[162:163], v[230:231], v[162:163]            // 000000008A00: D3B140A2 180345E6
	v_pk_mul_f32 v[164:165], v[230:231], v[164:165]            // 000000008A08: D3B140A4 180349E6
	v_pk_mul_f32 v[166:167], v[230:231], v[166:167]            // 000000008A10: D3B140A6 18034DE6
	v_pk_mul_f32 v[168:169], v[230:231], v[168:169]            // 000000008A18: D3B140A8 180351E6
	v_pk_mul_f32 v[170:171], v[230:231], v[170:171]            // 000000008A20: D3B140AA 180355E6
	v_pk_mul_f32 v[172:173], v[230:231], v[172:173]            // 000000008A28: D3B140AC 180359E6
	v_pk_mul_f32 v[174:175], v[230:231], v[174:175]            // 000000008A30: D3B140AE 18035DE6
	v_pk_mul_f32 v[176:177], v[230:231], v[176:177]            // 000000008A38: D3B140B0 180361E6
	v_pk_mul_f32 v[178:179], v[230:231], v[178:179]            // 000000008A40: D3B140B2 180365E6
	v_pk_mul_f32 v[180:181], v[230:231], v[180:181]            // 000000008A48: D3B140B4 180369E6
	v_pk_mul_f32 v[182:183], v[230:231], v[182:183]            // 000000008A50: D3B140B6 18036DE6
	v_pk_mul_f32 v[184:185], v[230:231], v[184:185]            // 000000008A58: D3B140B8 180371E6
	v_pk_mul_f32 v[186:187], v[230:231], v[186:187]            // 000000008A60: D3B140BA 180375E6
	v_pk_mul_f32 v[188:189], v[230:231], v[188:189]            // 000000008A68: D3B140BC 180379E6
	v_pk_mul_f32 v[190:191], v[230:231], v[190:191]            // 000000008A70: D3B140BE 18037DE6
	v_pk_mul_f32 v[192:193], v[230:231], v[192:193]            // 000000008A78: D3B140C0 180381E6
	v_pk_mul_f32 v[194:195], v[230:231], v[194:195]            // 000000008A80: D3B140C2 180385E6
	v_pk_mul_f32 v[196:197], v[230:231], v[196:197]            // 000000008A88: D3B140C4 180389E6
	v_pk_mul_f32 v[198:199], v[230:231], v[198:199]            // 000000008A90: D3B140C6 18038DE6
	v_pk_mul_f32 v[200:201], v[230:231], v[200:201]            // 000000008A98: D3B140C8 180391E6
	v_pk_mul_f32 v[202:203], v[230:231], v[202:203]            // 000000008AA0: D3B140CA 180395E6
	v_pk_mul_f32 v[204:205], v[230:231], v[204:205]            // 000000008AA8: D3B140CC 180399E6
	v_pk_mul_f32 v[206:207], v[230:231], v[206:207]            // 000000008AB0: D3B140CE 18039DE6
	v_pk_mul_f32 v[208:209], v[230:231], v[208:209]            // 000000008AB8: D3B140D0 1803A1E6
	v_pk_mul_f32 v[210:211], v[230:231], v[210:211]            // 000000008AC0: D3B140D2 1803A5E6
	v_pk_mul_f32 v[212:213], v[230:231], v[212:213]            // 000000008AC8: D3B140D4 1803A9E6
	v_pk_mul_f32 v[214:215], v[230:231], v[214:215]            // 000000008AD0: D3B140D6 1803ADE6
	v_pk_mul_f32 v[216:217], v[230:231], v[216:217]            // 000000008AD8: D3B140D8 1803B1E6
	v_pk_mul_f32 v[218:219], v[230:231], v[218:219]            // 000000008AE0: D3B140DA 1803B5E6
	v_pk_mul_f32 v[220:221], v[230:231], v[220:221]            // 000000008AE8: D3B140DC 1803B9E6
	v_pk_mul_f32 v[222:223], v[230:231], v[222:223]            // 000000008AF0: D3B140DE 1803BDE6
	s_nop 0                                                    // 000000008AF8: BF800000
	s_cmp_lt_i32 s62, s65                                      // 000000008AFC: BF04413E
	v_mfma_f32_32x32x16_bf16 v[80:95], a[236:239], a[44:47], v[80:95]// 000000008B00: D3B70050 1D4259EC
	s_cbranch_scc1 label_1708                                  // 000000008B08: BF850105
	s_sub_i32 s72, s38, s62                                    // 000000008B0C: 81C83E26
	v_sub_i32 v226, s72, v241                                  // 000000008B10: D29D00E2 0003E248
	v_cmp_lt_i32_e64 s[68:69], 0, v226                         // 000000008B18: D0C10044 0003C480
	v_cmp_lt_i32_e64 s[70:71], 1, v226                         // 000000008B20: D0C10046 0003C481
	v_cndmask_b32_e64 v32, v225, v32, s[68:69]                 // 000000008B28: D1000020 011241E1
	v_cndmask_b32_e64 v33, v225, v33, s[70:71]                 // 000000008B30: D1000021 011A43E1
	v_cmp_lt_i32_e64 s[68:69], 2, v226                         // 000000008B38: D0C10044 0003C482
	v_cmp_lt_i32_e64 s[70:71], 3, v226                         // 000000008B40: D0C10046 0003C483
	v_cndmask_b32_e64 v34, v225, v34, s[68:69]                 // 000000008B48: D1000022 011245E1
	v_cndmask_b32_e64 v35, v225, v35, s[70:71]                 // 000000008B50: D1000023 011A47E1
	v_cmp_lt_i32_e64 s[68:69], 8, v226                         // 000000008B58: D0C10044 0003C488
	v_cmp_lt_i32_e64 s[70:71], 9, v226                         // 000000008B60: D0C10046 0003C489
	v_cndmask_b32_e64 v36, v225, v36, s[68:69]                 // 000000008B68: D1000024 011249E1
	v_cndmask_b32_e64 v37, v225, v37, s[70:71]                 // 000000008B70: D1000025 011A4BE1
	v_cmp_lt_i32_e64 s[68:69], 10, v226                        // 000000008B78: D0C10044 0003C48A
	v_cmp_lt_i32_e64 s[70:71], 11, v226                        // 000000008B80: D0C10046 0003C48B
	v_cndmask_b32_e64 v38, v225, v38, s[68:69]                 // 000000008B88: D1000026 01124DE1
	v_cndmask_b32_e64 v39, v225, v39, s[70:71]                 // 000000008B90: D1000027 011A4FE1
	v_cmp_lt_i32_e64 s[68:69], 16, v226                        // 000000008B98: D0C10044 0003C490
	v_cmp_lt_i32_e64 s[70:71], 17, v226                        // 000000008BA0: D0C10046 0003C491
	v_cndmask_b32_e64 v40, v225, v40, s[68:69]                 // 000000008BA8: D1000028 011251E1
	v_cndmask_b32_e64 v41, v225, v41, s[70:71]                 // 000000008BB0: D1000029 011A53E1
	v_cmp_lt_i32_e64 s[68:69], 18, v226                        // 000000008BB8: D0C10044 0003C492
	v_cmp_lt_i32_e64 s[70:71], 19, v226                        // 000000008BC0: D0C10046 0003C493
	v_cndmask_b32_e64 v42, v225, v42, s[68:69]                 // 000000008BC8: D100002A 011255E1
	v_cndmask_b32_e64 v43, v225, v43, s[70:71]                 // 000000008BD0: D100002B 011A57E1
	v_cmp_lt_i32_e64 s[68:69], 24, v226                        // 000000008BD8: D0C10044 0003C498
	v_cmp_lt_i32_e64 s[70:71], 25, v226                        // 000000008BE0: D0C10046 0003C499
	v_cndmask_b32_e64 v44, v225, v44, s[68:69]                 // 000000008BE8: D100002C 011259E1
	v_cndmask_b32_e64 v45, v225, v45, s[70:71]                 // 000000008BF0: D100002D 011A5BE1
	v_cmp_lt_i32_e64 s[68:69], 26, v226                        // 000000008BF8: D0C10044 0003C49A
	v_cmp_lt_i32_e64 s[70:71], 27, v226                        // 000000008C00: D0C10046 0003C49B
	v_cndmask_b32_e64 v46, v225, v46, s[68:69]                 // 000000008C08: D100002E 01125DE1
	v_cndmask_b32_e64 v47, v225, v47, s[70:71]                 // 000000008C10: D100002F 011A5FE1
	v_cmp_lt_i32_e64 s[68:69], 32, v226                        // 000000008C18: D0C10044 0003C4A0
	v_cmp_lt_i32_e64 s[70:71], 33, v226                        // 000000008C20: D0C10046 0003C4A1
	v_cndmask_b32_e64 v48, v225, v48, s[68:69]                 // 000000008C28: D1000030 011261E1
	v_cndmask_b32_e64 v49, v225, v49, s[70:71]                 // 000000008C30: D1000031 011A63E1
	v_cmp_lt_i32_e64 s[68:69], 34, v226                        // 000000008C38: D0C10044 0003C4A2
	v_cmp_lt_i32_e64 s[70:71], 35, v226                        // 000000008C40: D0C10046 0003C4A3
	v_cndmask_b32_e64 v50, v225, v50, s[68:69]                 // 000000008C48: D1000032 011265E1
	v_cndmask_b32_e64 v51, v225, v51, s[70:71]                 // 000000008C50: D1000033 011A67E1
	v_cmp_lt_i32_e64 s[68:69], 40, v226                        // 000000008C58: D0C10044 0003C4A8
	v_cmp_lt_i32_e64 s[70:71], 41, v226                        // 000000008C60: D0C10046 0003C4A9
	v_cndmask_b32_e64 v52, v225, v52, s[68:69]                 // 000000008C68: D1000034 011269E1
	v_cndmask_b32_e64 v53, v225, v53, s[70:71]                 // 000000008C70: D1000035 011A6BE1
	v_cmp_lt_i32_e64 s[68:69], 42, v226                        // 000000008C78: D0C10044 0003C4AA
	v_cmp_lt_i32_e64 s[70:71], 43, v226                        // 000000008C80: D0C10046 0003C4AB
	v_cndmask_b32_e64 v54, v225, v54, s[68:69]                 // 000000008C88: D1000036 01126DE1
	v_cndmask_b32_e64 v55, v225, v55, s[70:71]                 // 000000008C90: D1000037 011A6FE1
	v_cmp_lt_i32_e64 s[68:69], 48, v226                        // 000000008C98: D0C10044 0003C4B0
	v_cmp_lt_i32_e64 s[70:71], 49, v226                        // 000000008CA0: D0C10046 0003C4B1
	v_cndmask_b32_e64 v56, v225, v56, s[68:69]                 // 000000008CA8: D1000038 011271E1
	v_cndmask_b32_e64 v57, v225, v57, s[70:71]                 // 000000008CB0: D1000039 011A73E1
	v_cmp_lt_i32_e64 s[68:69], 50, v226                        // 000000008CB8: D0C10044 0003C4B2
	v_cmp_lt_i32_e64 s[70:71], 51, v226                        // 000000008CC0: D0C10046 0003C4B3
	v_cndmask_b32_e64 v58, v225, v58, s[68:69]                 // 000000008CC8: D100003A 011275E1
	v_cndmask_b32_e64 v59, v225, v59, s[70:71]                 // 000000008CD0: D100003B 011A77E1
	v_cmp_lt_i32_e64 s[68:69], 56, v226                        // 000000008CD8: D0C10044 0003C4B8
	v_cmp_lt_i32_e64 s[70:71], 57, v226                        // 000000008CE0: D0C10046 0003C4B9
	v_cndmask_b32_e64 v60, v225, v60, s[68:69]                 // 000000008CE8: D100003C 011279E1
	v_cndmask_b32_e64 v61, v225, v61, s[70:71]                 // 000000008CF0: D100003D 011A7BE1
	v_cmp_lt_i32_e64 s[68:69], 58, v226                        // 000000008CF8: D0C10044 0003C4BA
	v_cmp_lt_i32_e64 s[70:71], 59, v226                        // 000000008D00: D0C10046 0003C4BB
	v_cndmask_b32_e64 v62, v225, v62, s[68:69]                 // 000000008D08: D100003E 01127DE1
	v_cndmask_b32_e64 v63, v225, v63, s[70:71]                 // 000000008D10: D100003F 011A7FE1
	v_sub_i32 v226, v226, 64                                   // 000000008D18: D29D00E2 000181E2
	v_cmp_lt_i32_e64 s[68:69], 0, v226                         // 000000008D20: D0C10044 0003C480
	v_cmp_lt_i32_e64 s[70:71], 1, v226                         // 000000008D28: D0C10046 0003C481
	v_cndmask_b32_e64 v64, v225, v64, s[68:69]                 // 000000008D30: D1000040 011281E1
	v_cndmask_b32_e64 v65, v225, v65, s[70:71]                 // 000000008D38: D1000041 011A83E1
	v_cmp_lt_i32_e64 s[68:69], 2, v226                         // 000000008D40: D0C10044 0003C482
	v_cmp_lt_i32_e64 s[70:71], 3, v226                         // 000000008D48: D0C10046 0003C483
	v_cndmask_b32_e64 v66, v225, v66, s[68:69]                 // 000000008D50: D1000042 011285E1
	v_cndmask_b32_e64 v67, v225, v67, s[70:71]                 // 000000008D58: D1000043 011A87E1
	v_cmp_lt_i32_e64 s[68:69], 8, v226                         // 000000008D60: D0C10044 0003C488
	v_cmp_lt_i32_e64 s[70:71], 9, v226                         // 000000008D68: D0C10046 0003C489
	v_cndmask_b32_e64 v68, v225, v68, s[68:69]                 // 000000008D70: D1000044 011289E1
	v_cndmask_b32_e64 v69, v225, v69, s[70:71]                 // 000000008D78: D1000045 011A8BE1
	v_cmp_lt_i32_e64 s[68:69], 10, v226                        // 000000008D80: D0C10044 0003C48A
	v_cmp_lt_i32_e64 s[70:71], 11, v226                        // 000000008D88: D0C10046 0003C48B
	v_cndmask_b32_e64 v70, v225, v70, s[68:69]                 // 000000008D90: D1000046 01128DE1
	v_cndmask_b32_e64 v71, v225, v71, s[70:71]                 // 000000008D98: D1000047 011A8FE1
	v_cmp_lt_i32_e64 s[68:69], 16, v226                        // 000000008DA0: D0C10044 0003C490
	v_cmp_lt_i32_e64 s[70:71], 17, v226                        // 000000008DA8: D0C10046 0003C491
	v_cndmask_b32_e64 v72, v225, v72, s[68:69]                 // 000000008DB0: D1000048 011291E1
	v_cndmask_b32_e64 v73, v225, v73, s[70:71]                 // 000000008DB8: D1000049 011A93E1
	v_cmp_lt_i32_e64 s[68:69], 18, v226                        // 000000008DC0: D0C10044 0003C492
	v_cmp_lt_i32_e64 s[70:71], 19, v226                        // 000000008DC8: D0C10046 0003C493
	v_cndmask_b32_e64 v74, v225, v74, s[68:69]                 // 000000008DD0: D100004A 011295E1
	v_cndmask_b32_e64 v75, v225, v75, s[70:71]                 // 000000008DD8: D100004B 011A97E1
	v_cmp_lt_i32_e64 s[68:69], 24, v226                        // 000000008DE0: D0C10044 0003C498
	v_cmp_lt_i32_e64 s[70:71], 25, v226                        // 000000008DE8: D0C10046 0003C499
	v_cndmask_b32_e64 v76, v225, v76, s[68:69]                 // 000000008DF0: D100004C 011299E1
	v_cndmask_b32_e64 v77, v225, v77, s[70:71]                 // 000000008DF8: D100004D 011A9BE1
	v_cmp_lt_i32_e64 s[68:69], 26, v226                        // 000000008E00: D0C10044 0003C49A
	v_cmp_lt_i32_e64 s[70:71], 27, v226                        // 000000008E08: D0C10046 0003C49B
	v_cndmask_b32_e64 v78, v225, v78, s[68:69]                 // 000000008E10: D100004E 01129DE1
	v_cndmask_b32_e64 v79, v225, v79, s[70:71]                 // 000000008E18: D100004F 011A9FE1
	v_cmp_lt_i32_e64 s[68:69], 32, v226                        // 000000008E20: D0C10044 0003C4A0
	v_cmp_lt_i32_e64 s[70:71], 33, v226                        // 000000008E28: D0C10046 0003C4A1
	v_cndmask_b32_e64 v80, v225, v80, s[68:69]                 // 000000008E30: D1000050 0112A1E1
	v_cndmask_b32_e64 v81, v225, v81, s[70:71]                 // 000000008E38: D1000051 011AA3E1
	v_cmp_lt_i32_e64 s[68:69], 34, v226                        // 000000008E40: D0C10044 0003C4A2
	v_cmp_lt_i32_e64 s[70:71], 35, v226                        // 000000008E48: D0C10046 0003C4A3
	v_cndmask_b32_e64 v82, v225, v82, s[68:69]                 // 000000008E50: D1000052 0112A5E1
	v_cndmask_b32_e64 v83, v225, v83, s[70:71]                 // 000000008E58: D1000053 011AA7E1
	v_cmp_lt_i32_e64 s[68:69], 40, v226                        // 000000008E60: D0C10044 0003C4A8
	v_cmp_lt_i32_e64 s[70:71], 41, v226                        // 000000008E68: D0C10046 0003C4A9
	v_cndmask_b32_e64 v84, v225, v84, s[68:69]                 // 000000008E70: D1000054 0112A9E1
	v_cndmask_b32_e64 v85, v225, v85, s[70:71]                 // 000000008E78: D1000055 011AABE1
	v_cmp_lt_i32_e64 s[68:69], 42, v226                        // 000000008E80: D0C10044 0003C4AA
	v_cmp_lt_i32_e64 s[70:71], 43, v226                        // 000000008E88: D0C10046 0003C4AB
	v_cndmask_b32_e64 v86, v225, v86, s[68:69]                 // 000000008E90: D1000056 0112ADE1
	v_cndmask_b32_e64 v87, v225, v87, s[70:71]                 // 000000008E98: D1000057 011AAFE1
	v_cmp_lt_i32_e64 s[68:69], 48, v226                        // 000000008EA0: D0C10044 0003C4B0
	v_cmp_lt_i32_e64 s[70:71], 49, v226                        // 000000008EA8: D0C10046 0003C4B1
	v_cndmask_b32_e64 v88, v225, v88, s[68:69]                 // 000000008EB0: D1000058 0112B1E1
	v_cndmask_b32_e64 v89, v225, v89, s[70:71]                 // 000000008EB8: D1000059 011AB3E1
	v_cmp_lt_i32_e64 s[68:69], 50, v226                        // 000000008EC0: D0C10044 0003C4B2
	v_cmp_lt_i32_e64 s[70:71], 51, v226                        // 000000008EC8: D0C10046 0003C4B3
	v_cndmask_b32_e64 v90, v225, v90, s[68:69]                 // 000000008ED0: D100005A 0112B5E1
	v_cndmask_b32_e64 v91, v225, v91, s[70:71]                 // 000000008ED8: D100005B 011AB7E1
	v_cmp_lt_i32_e64 s[68:69], 56, v226                        // 000000008EE0: D0C10044 0003C4B8
	v_cmp_lt_i32_e64 s[70:71], 57, v226                        // 000000008EE8: D0C10046 0003C4B9
	v_cndmask_b32_e64 v92, v225, v92, s[68:69]                 // 000000008EF0: D100005C 0112B9E1
	v_cndmask_b32_e64 v93, v225, v93, s[70:71]                 // 000000008EF8: D100005D 011ABBE1
	v_cmp_lt_i32_e64 s[68:69], 58, v226                        // 000000008F00: D0C10044 0003C4BA
	v_cmp_lt_i32_e64 s[70:71], 59, v226                        // 000000008F08: D0C10046 0003C4BB
	v_cndmask_b32_e64 v94, v225, v94, s[68:69]                 // 000000008F10: D100005E 0112BDE1
	v_cndmask_b32_e64 v95, v225, v95, s[70:71]                 // 000000008F18: D100005F 011ABFE1

0000000000008f20 <label_1708>:
	s_waitcnt vmcnt(12) lgkmcnt(0)                             // 000000008F20: BF8C007C
	s_barrier                                                  // 000000008F24: BF8A0000
	s_mov_b32 m0, s35                                          // 000000008F28: BEFC0023
	v_mfma_f32_32x32x16_bf16 v[160:175], a[48:51], v[96:99], v[160:175]// 000000008F2C: D3B700A0 0E82C130
	ds_read_b64_tr_b16 a[144:145], v30 offset:17408            // 000000008F34: DBC64400 9000001E
	ds_read_b64_tr_b16 a[146:147], v30 offset:17920            // 000000008F3C: DBC64600 9200001E
	ds_read_b64_tr_b16 a[148:149], v30 offset:19584            // 000000008F44: DBC64C80 9400001E
	ds_read_b64_tr_b16 a[150:151], v30 offset:20096            // 000000008F4C: DBC64E80 9600001E
	v_mov_b32_e32 v237, v233                                   // 000000008F54: 7FDA03E9
	v_max3_f32 v237, v32, v33, v237                            // 000000008F58: D1D300ED 07B64320
	v_mfma_f32_32x32x16_bf16 v[160:175], a[52:55], v[100:103], v[160:175]// 000000008F60: D3B700A0 0E82C934
	buffer_load_dwordx4 v19, s[16:19], s57 offen lds           // 000000008F68: E05D1000 39040013
	v_max3_f32 v237, v34, v35, v237                            // 000000008F70: D1D300ED 07B64722
	v_max3_f32 v237, v36, v37, v237                            // 000000008F78: D1D300ED 07B64B24
	v_max3_f32 v237, v38, v39, v237                            // 000000008F80: D1D300ED 07B64F26
	v_max3_f32 v237, v40, v41, v237                            // 000000008F88: D1D300ED 07B65328
	v_mfma_f32_32x32x16_bf16 v[160:175], a[56:59], v[104:107], v[160:175]// 000000008F90: D3B700A0 0E82D138
	ds_read_b64_tr_b16 a[152:153], v30 offset:21760            // 000000008F98: DBC65500 9800001E
	ds_read_b64_tr_b16 a[154:155], v30 offset:22272            // 000000008FA0: DBC65700 9A00001E
	ds_read_b64_tr_b16 a[156:157], v30 offset:23936            // 000000008FA8: DBC65D80 9C00001E
	ds_read_b64_tr_b16 a[158:159], v30 offset:24448            // 000000008FB0: DBC65F80 9E00001E
	v_max3_f32 v237, v42, v43, v237                            // 000000008FB8: D1D300ED 07B6572A
	v_max3_f32 v237, v44, v45, v237                            // 000000008FC0: D1D300ED 07B65B2C
	v_mfma_f32_32x32x16_bf16 v[160:175], a[60:63], v[108:111], v[160:175]// 000000008FC8: D3B700A0 0E82D93C
	s_add_u32 m0, 0x1100, m0                                   // 000000008FD0: 807C7CFF 00001100
	buffer_load_dwordx4 v20, s[16:19], s57 offen lds           // 000000008FD8: E05D1000 39040014
	s_add_u32 m0, 0x1100, m0                                   // 000000008FE0: 807C7CFF 00001100
	v_max3_f32 v237, v46, v47, v237                            // 000000008FE8: D1D300ED 07B65F2E
	v_max3_f32 v237, v48, v49, v237                            // 000000008FF0: D1D300ED 07B66330
	v_mfma_f32_32x32x16_bf16 v[176:191], a[64:67], v[96:99], v[176:191]// 000000008FF8: D3B700B0 0EC2C140
	ds_read_b64_tr_b16 a[160:161], v30 offset:17472            // 000000009000: DBC64440 A000001E
	ds_read_b64_tr_b16 a[162:163], v30 offset:17984            // 000000009008: DBC64640 A200001E
	ds_read_b64_tr_b16 a[164:165], v30 offset:19648            // 000000009010: DBC64CC0 A400001E
	ds_read_b64_tr_b16 a[166:167], v30 offset:20160            // 000000009018: DBC64EC0 A600001E
	v_max3_f32 v237, v50, v51, v237                            // 000000009020: D1D300ED 07B66732
	v_max3_f32 v237, v52, v53, v237                            // 000000009028: D1D300ED 07B66B34
	v_mfma_f32_32x32x16_bf16 v[176:191], a[68:71], v[100:103], v[176:191]// 000000009030: D3B700B0 0EC2C944
	buffer_load_dwordx4 v21, s[16:19], s57 offen lds           // 000000009038: E05D1000 39040015
	v_max3_f32 v237, v54, v55, v237                            // 000000009040: D1D300ED 07B66F36
	v_max3_f32 v237, v56, v57, v237                            // 000000009048: D1D300ED 07B67338
	v_max3_f32 v237, v58, v59, v237                            // 000000009050: D1D300ED 07B6773A
	v_max3_f32 v237, v60, v61, v237                            // 000000009058: D1D300ED 07B67B3C
	v_mfma_f32_32x32x16_bf16 v[176:191], a[72:75], v[104:107], v[176:191]// 000000009060: D3B700B0 0EC2D148
	ds_read_b64_tr_b16 a[168:169], v30 offset:21824            // 000000009068: DBC65540 A800001E
	ds_read_b64_tr_b16 a[170:171], v30 offset:22336            // 000000009070: DBC65740 AA00001E
	ds_read_b64_tr_b16 a[172:173], v30 offset:24000            // 000000009078: DBC65DC0 AC00001E
	ds_read_b64_tr_b16 a[174:175], v30 offset:24512            // 000000009080: DBC65FC0 AE00001E
	v_max3_f32 v237, v62, v63, v237                            // 000000009088: D1D300ED 07B67F3E
	v_max3_f32 v237, v64, v65, v237                            // 000000009090: D1D300ED 07B68340
	v_mfma_f32_32x32x16_bf16 v[176:191], a[76:79], v[108:111], v[176:191]// 000000009098: D3B700B0 0EC2D94C
	s_add_u32 m0, 0x1100, m0                                   // 0000000090A0: 807C7CFF 00001100
	buffer_load_dwordx4 v22, s[16:19], s57 offen lds           // 0000000090A8: E05D1000 39040016
	s_add_u32 m0, 0x1100, m0                                   // 0000000090B0: 807C7CFF 00001100
	v_max3_f32 v237, v66, v67, v237                            // 0000000090B8: D1D300ED 07B68742
	v_max3_f32 v237, v68, v69, v237                            // 0000000090C0: D1D300ED 07B68B44
	v_mfma_f32_32x32x16_bf16 v[192:207], a[80:83], v[96:99], v[192:207]// 0000000090C8: D3B700C0 0F02C150
	ds_read_b64_tr_b16 a[176:177], v31 offset:17408            // 0000000090D0: DBC64400 B000001F
	ds_read_b64_tr_b16 a[178:179], v31 offset:17920            // 0000000090D8: DBC64600 B200001F
	ds_read_b64_tr_b16 a[180:181], v31 offset:19584            // 0000000090E0: DBC64C80 B400001F
	ds_read_b64_tr_b16 a[182:183], v31 offset:20096            // 0000000090E8: DBC64E80 B600001F
	v_max3_f32 v237, v70, v71, v237                            // 0000000090F0: D1D300ED 07B68F46
	v_max3_f32 v237, v72, v73, v237                            // 0000000090F8: D1D300ED 07B69348
	v_mfma_f32_32x32x16_bf16 v[192:207], a[84:87], v[100:103], v[192:207]// 000000009100: D3B700C0 0F02C954
	v_max3_f32 v237, v74, v75, v237                            // 000000009108: D1D300ED 07B6974A
	v_max3_f32 v237, v76, v77, v237                            // 000000009110: D1D300ED 07B69B4C
	v_max3_f32 v237, v78, v79, v237                            // 000000009118: D1D300ED 07B69F4E
	v_max3_f32 v237, v80, v81, v237                            // 000000009120: D1D300ED 07B6A350
	v_max3_f32 v237, v82, v83, v237                            // 000000009128: D1D300ED 07B6A752
	v_max3_f32 v237, v84, v85, v237                            // 000000009130: D1D300ED 07B6AB54
	v_mfma_f32_32x32x16_bf16 v[192:207], a[88:91], v[104:107], v[192:207]// 000000009138: D3B700C0 0F02D158
	ds_read_b64_tr_b16 a[184:185], v31 offset:21760            // 000000009140: DBC65500 B800001F
	ds_read_b64_tr_b16 a[186:187], v31 offset:22272            // 000000009148: DBC65700 BA00001F
	ds_read_b64_tr_b16 a[188:189], v31 offset:23936            // 000000009150: DBC65D80 BC00001F
	ds_read_b64_tr_b16 a[190:191], v31 offset:24448            // 000000009158: DBC65F80 BE00001F
	v_max3_f32 v237, v86, v87, v237                            // 000000009160: D1D300ED 07B6AF56
	v_max3_f32 v237, v88, v89, v237                            // 000000009168: D1D300ED 07B6B358
	v_mfma_f32_32x32x16_bf16 v[192:207], a[92:95], v[108:111], v[192:207]// 000000009170: D3B700C0 0F02D95C
	v_max3_f32 v237, v90, v91, v237                            // 000000009178: D1D300ED 07B6B75A
	v_max3_f32 v237, v92, v93, v237                            // 000000009180: D1D300ED 07B6BB5C
	v_max3_f32 v237, v94, v95, v237                            // 000000009188: D1D300ED 07B6BF5E
	v_mov_b32_e32 v238, v237                                   // 000000009190: 7FDC03ED
	v_nop                                                      // 000000009194: 7E000000
	v_nop                                                      // 000000009198: 7E000000
	v_mfma_f32_32x32x16_bf16 v[208:223], a[96:99], v[96:99], v[208:223]// 00000000919C: D3B700D0 0F42C160
	ds_read_b64_tr_b16 a[192:193], v31 offset:17472            // 0000000091A4: DBC64440 C000001F
	ds_read_b64_tr_b16 a[194:195], v31 offset:17984            // 0000000091AC: DBC64640 C200001F
	ds_read_b64_tr_b16 a[196:197], v31 offset:19648            // 0000000091B4: DBC64CC0 C400001F
	ds_read_b64_tr_b16 a[198:199], v31 offset:20160            // 0000000091BC: DBC64EC0 C600001F
	v_permlane32_swap_b32_e32 v238, v237                       // 0000000091C4: 7FDCB5ED
	v_mfma_f32_32x32x16_bf16 v[208:223], a[100:103], v[100:103], v[208:223]// 0000000091C8: D3B700D0 0F42C964
	v_max_f32_e32 v237, v238, v237                             // 0000000091D0: 17DBDBEE
	v_sub_f32_e32 v230, v233, v237                             // 0000000091D4: 05CDDBE9
	v_mov_b32_e32 v233, v237                                   // 0000000091D8: 7FD203ED
	v_mul_f32_e32 v236, s32, v237                              // 0000000091DC: 0BD9DA20
	v_mul_f32_e32 v230, s32, v230                              // 0000000091E0: 0BCDCC20
	v_mfma_f32_32x32x16_bf16 v[208:223], a[104:107], v[104:107], v[208:223]// 0000000091E4: D3B700D0 0F42D168
	ds_read_b64_tr_b16 a[200:201], v31 offset:21824            // 0000000091EC: DBC65540 C800001F
	ds_read_b64_tr_b16 a[202:203], v31 offset:22336            // 0000000091F4: DBC65740 CA00001F
	ds_read_b64_tr_b16 a[204:205], v31 offset:24000            // 0000000091FC: DBC65DC0 CC00001F
	ds_read_b64_tr_b16 a[206:207], v31 offset:24512            // 000000009204: DBC65FC0 CE00001F
	v_exp_f32_e32 v230, v230                                   // 00000000920C: 7FCC41E6
	v_mfma_f32_32x32x16_bf16 v[208:223], a[108:111], v[108:111], v[208:223]// 000000009210: D3B700D0 0F42D96C
	v_fma_f32 v32, v32, s32, -v236                             // 000000009218: D1CB0020 87B04120
	v_fma_f32 v33, v33, s32, -v236                             // 000000009220: D1CB0021 87B04121
	v_fma_f32 v34, v34, s32, -v236                             // 000000009228: D1CB0022 87B04122
	v_fma_f32 v35, v35, s32, -v236                             // 000000009230: D1CB0023 87B04123
	v_fma_f32 v36, v36, s32, -v236                             // 000000009238: D1CB0024 87B04124
	v_fma_f32 v37, v37, s32, -v236                             // 000000009240: D1CB0025 87B04125
	s_waitcnt vmcnt(10) lgkmcnt(8)                             // 000000009248: BF8C087A
	s_barrier                                                  // 00000000924C: BF8A0000
	s_mov_b32 m0, s36                                          // 000000009250: BEFC0024
	v_mfma_f32_32x32x16_bf16 v[160:175], a[144:147], v[112:115], v[160:175]// 000000009254: D3B700A0 0E82E190
	ds_read_b128 a[48:51], v27                                 // 00000000925C: DBFE0000 3000001B
	ds_read_b128 a[52:55], v27 offset:32                       // 000000009264: DBFE0020 3400001B
	ds_read_b128 a[56:59], v27 offset:64                       // 00000000926C: DBFE0040 3800001B
	ds_read_b128 a[60:63], v27 offset:96                       // 000000009274: DBFE0060 3C00001B
	v_fma_f32 v38, v38, s32, -v236                             // 00000000927C: D1CB0026 87B04126
	v_fma_f32 v39, v39, s32, -v236                             // 000000009284: D1CB0027 87B04127
	v_mfma_f32_32x32x16_bf16 v[160:175], a[148:151], v[116:119], v[160:175]// 00000000928C: D3B700A0 0E82E994
	buffer_load_dwordx4 v23, s[16:19], s57 offen lds           // 000000009294: E05D1000 39040017
	v_fma_f32 v40, v40, s32, -v236                             // 00000000929C: D1CB0028 87B04128
	v_fma_f32 v41, v41, s32, -v236                             // 0000000092A4: D1CB0029 87B04129
	v_fma_f32 v42, v42, s32, -v236                             // 0000000092AC: D1CB002A 87B0412A
	v_fma_f32 v43, v43, s32, -v236                             // 0000000092B4: D1CB002B 87B0412B
	v_mfma_f32_32x32x16_bf16 v[160:175], a[152:155], v[120:123], v[160:175]// 0000000092BC: D3B700A0 0E82F198
	ds_read_b128 a[64:67], v28                                 // 0000000092C4: DBFE0000 4000001C
	ds_read_b128 a[68:71], v28 offset:32                       // 0000000092CC: DBFE0020 4400001C
	ds_read_b128 a[72:75], v28 offset:64                       // 0000000092D4: DBFE0040 4800001C
	ds_read_b128 a[76:79], v28 offset:96                       // 0000000092DC: DBFE0060 4C00001C
	v_fma_f32 v44, v44, s32, -v236                             // 0000000092E4: D1CB002C 87B0412C
	v_fma_f32 v45, v45, s32, -v236                             // 0000000092EC: D1CB002D 87B0412D
	v_mfma_f32_32x32x16_bf16 v[160:175], a[156:159], v[124:127], v[160:175]// 0000000092F4: D3B700A0 0E82F99C
	s_add_u32 m0, 0x1100, m0                                   // 0000000092FC: 807C7CFF 00001100
	buffer_load_dwordx4 v24, s[16:19], s57 offen lds           // 000000009304: E05D1000 39040018
	s_add_u32 m0, 0x1100, m0                                   // 00000000930C: 807C7CFF 00001100
	v_fma_f32 v46, v46, s32, -v236                             // 000000009314: D1CB002E 87B0412E
	v_fma_f32 v47, v47, s32, -v236                             // 00000000931C: D1CB002F 87B0412F
	s_waitcnt lgkmcnt(8)                                       // 000000009324: BF8CC87F
	s_nop 0                                                    // 000000009328: BF800000
	v_mfma_f32_32x32x16_bf16 v[176:191], a[160:163], v[112:115], v[176:191]// 00000000932C: D3B700B0 0EC2E1A0
	ds_read_b128 a[80:83], v29                                 // 000000009334: DBFE0000 5000001D
	ds_read_b128 a[84:87], v29 offset:32                       // 00000000933C: DBFE0020 5400001D
	ds_read_b128 a[88:91], v29 offset:64                       // 000000009344: DBFE0040 5800001D
	ds_read_b128 a[92:95], v29 offset:96                       // 00000000934C: DBFE0060 5C00001D
	v_fma_f32 v48, v48, s32, -v236                             // 000000009354: D1CB0030 87B04130
	v_fma_f32 v49, v49, s32, -v236                             // 00000000935C: D1CB0031 87B04131
	v_mfma_f32_32x32x16_bf16 v[176:191], a[164:167], v[116:119], v[176:191]// 000000009364: D3B700B0 0EC2E9A4
	buffer_load_dwordx4 v25, s[16:19], s57 offen lds           // 00000000936C: E05D1000 39040019
	v_fma_f32 v50, v50, s32, -v236                             // 000000009374: D1CB0032 87B04132
	v_fma_f32 v51, v51, s32, -v236                             // 00000000937C: D1CB0033 87B04133
	v_fma_f32 v52, v52, s32, -v236                             // 000000009384: D1CB0034 87B04134
	v_fma_f32 v53, v53, s32, -v236                             // 00000000938C: D1CB0035 87B04135
	v_mfma_f32_32x32x16_bf16 v[176:191], a[168:171], v[120:123], v[176:191]// 000000009394: D3B700B0 0EC2F1A8
	ds_read_b128 a[96:99], v27 offset:512                      // 00000000939C: DBFE0200 6000001B
	ds_read_b128 a[100:103], v27 offset:544                    // 0000000093A4: DBFE0220 6400001B
	ds_read_b128 a[104:107], v27 offset:576                    // 0000000093AC: DBFE0240 6800001B
	ds_read_b128 a[108:111], v27 offset:608                    // 0000000093B4: DBFE0260 6C00001B
	v_fma_f32 v54, v54, s32, -v236                             // 0000000093BC: D1CB0036 87B04136
	v_fma_f32 v55, v55, s32, -v236                             // 0000000093C4: D1CB0037 87B04137
	v_mfma_f32_32x32x16_bf16 v[176:191], a[172:175], v[124:127], v[176:191]// 0000000093CC: D3B700B0 0EC2F9AC
	s_add_u32 m0, 0x1100, m0                                   // 0000000093D4: 807C7CFF 00001100
	buffer_load_dwordx4 v26, s[16:19], s57 offen lds           // 0000000093DC: E05D1000 3904001A
	s_add_u32 m0, 0x1100, m0                                   // 0000000093E4: 807C7CFF 00001100
	v_fma_f32 v56, v56, s32, -v236                             // 0000000093EC: D1CB0038 87B04138
	v_fma_f32 v57, v57, s32, -v236                             // 0000000093F4: D1CB0039 87B04139
	v_mfma_f32_32x32x16_bf16 v[192:207], a[176:179], v[112:115], v[192:207]// 0000000093FC: D3B700C0 0F02E1B0
	ds_read_b128 a[112:115], v28 offset:512                    // 000000009404: DBFE0200 7000001C
	ds_read_b128 a[116:119], v28 offset:544                    // 00000000940C: DBFE0220 7400001C
	ds_read_b128 a[120:123], v28 offset:576                    // 000000009414: DBFE0240 7800001C
	ds_read_b128 a[124:127], v28 offset:608                    // 00000000941C: DBFE0260 7C00001C
	v_fma_f32 v58, v58, s32, -v236                             // 000000009424: D1CB003A 87B0413A
	v_fma_f32 v59, v59, s32, -v236                             // 00000000942C: D1CB003B 87B0413B
	v_mfma_f32_32x32x16_bf16 v[192:207], a[180:183], v[116:119], v[192:207]// 000000009434: D3B700C0 0F02E9B4
	v_fma_f32 v60, v60, s32, -v236                             // 00000000943C: D1CB003C 87B0413C
	v_fma_f32 v61, v61, s32, -v236                             // 000000009444: D1CB003D 87B0413D
	v_fma_f32 v62, v62, s32, -v236                             // 00000000944C: D1CB003E 87B0413E
	v_fma_f32 v63, v63, s32, -v236                             // 000000009454: D1CB003F 87B0413F
	v_fma_f32 v64, v64, s32, -v236                             // 00000000945C: D1CB0040 87B04140
	v_fma_f32 v65, v65, s32, -v236                             // 000000009464: D1CB0041 87B04141
	v_mfma_f32_32x32x16_bf16 v[192:207], a[184:187], v[120:123], v[192:207]// 00000000946C: D3B700C0 0F02F1B8
	ds_read_b128 a[128:131], v29 offset:512                    // 000000009474: DBFE0200 8000001D
	ds_read_b128 a[132:135], v29 offset:544                    // 00000000947C: DBFE0220 8400001D
	ds_read_b128 a[136:139], v29 offset:576                    // 000000009484: DBFE0240 8800001D
	ds_read_b128 a[140:143], v29 offset:608                    // 00000000948C: DBFE0260 8C00001D
	v_fma_f32 v66, v66, s32, -v236                             // 000000009494: D1CB0042 87B04142
	v_fma_f32 v67, v67, s32, -v236                             // 00000000949C: D1CB0043 87B04143
	v_mfma_f32_32x32x16_bf16 v[192:207], a[188:191], v[124:127], v[192:207]// 0000000094A4: D3B700C0 0F02F9BC
	v_fma_f32 v68, v68, s32, -v236                             // 0000000094AC: D1CB0044 87B04144
	v_fma_f32 v69, v69, s32, -v236                             // 0000000094B4: D1CB0045 87B04145
	v_fma_f32 v70, v70, s32, -v236                             // 0000000094BC: D1CB0046 87B04146
	v_fma_f32 v71, v71, s32, -v236                             // 0000000094C4: D1CB0047 87B04147
	v_fma_f32 v72, v72, s32, -v236                             // 0000000094CC: D1CB0048 87B04148
	v_fma_f32 v73, v73, s32, -v236                             // 0000000094D4: D1CB0049 87B04149
	v_mfma_f32_32x32x16_bf16 v[208:223], a[192:195], v[112:115], v[208:223]// 0000000094DC: D3B700D0 0F42E1C0
	v_fma_f32 v74, v74, s32, -v236                             // 0000000094E4: D1CB004A 87B0414A
	v_fma_f32 v75, v75, s32, -v236                             // 0000000094EC: D1CB004B 87B0414B
	v_fma_f32 v76, v76, s32, -v236                             // 0000000094F4: D1CB004C 87B0414C
	v_fma_f32 v77, v77, s32, -v236                             // 0000000094FC: D1CB004D 87B0414D
	v_fma_f32 v78, v78, s32, -v236                             // 000000009504: D1CB004E 87B0414E
	v_fma_f32 v79, v79, s32, -v236                             // 00000000950C: D1CB004F 87B0414F
	v_mfma_f32_32x32x16_bf16 v[208:223], a[196:199], v[116:119], v[208:223]// 000000009514: D3B700D0 0F42E9C4
	v_fma_f32 v80, v80, s32, -v236                             // 00000000951C: D1CB0050 87B04150
	v_fma_f32 v81, v81, s32, -v236                             // 000000009524: D1CB0051 87B04151
	v_fma_f32 v82, v82, s32, -v236                             // 00000000952C: D1CB0052 87B04152
	v_fma_f32 v83, v83, s32, -v236                             // 000000009534: D1CB0053 87B04153
	v_fma_f32 v84, v84, s32, -v236                             // 00000000953C: D1CB0054 87B04154
	v_fma_f32 v85, v85, s32, -v236                             // 000000009544: D1CB0055 87B04155
	v_mfma_f32_32x32x16_bf16 v[208:223], a[200:203], v[120:123], v[208:223]// 00000000954C: D3B700D0 0F42F1C8
	v_fma_f32 v86, v86, s32, -v236                             // 000000009554: D1CB0056 87B04156
	v_fma_f32 v87, v87, s32, -v236                             // 00000000955C: D1CB0057 87B04157
	v_fma_f32 v88, v88, s32, -v236                             // 000000009564: D1CB0058 87B04158
	v_fma_f32 v89, v89, s32, -v236                             // 00000000956C: D1CB0059 87B04159
	v_fma_f32 v90, v90, s32, -v236                             // 000000009574: D1CB005A 87B0415A
	v_fma_f32 v91, v91, s32, -v236                             // 00000000957C: D1CB005B 87B0415B
	s_add_i32 s57, s59, s57                                    // 000000009584: 8139393B
	v_fma_f32 v92, v92, s32, -v236                             // 000000009588: D1CB005C 87B0415C
	v_fma_f32 v93, v93, s32, -v236                             // 000000009590: D1CB005D 87B0415D
	v_fma_f32 v94, v94, s32, -v236                             // 000000009598: D1CB005E 87B0415E
	v_fma_f32 v95, v95, s32, -v236                             // 0000000095A0: D1CB005F 87B0415F
	v_exp_f32_e32 v32, v32                                     // 0000000095A8: 7E404120
	s_addk_i32 s61, 0x80                                       // 0000000095AC: B73D0080
	s_add_i32 s62, s62, s63                                    // 0000000095B0: 813E3F3E
	s_cmp_lt_i32 s61, s60                                      // 0000000095B4: BF043C3D
	v_mfma_f32_32x32x16_bf16 v[208:223], a[204:207], v[124:127], v[208:223]// 0000000095B8: D3B700D0 0F42F9CC
	s_cbranch_scc0 label_18B2                                  // 0000000095C0: BF840001
	s_branch label_0F2E                                        // 0000000095C4: BF82F67C

00000000000095c8 <label_18B2>:
	s_add_u32 s72, s60, 0x7f                                   // 0000000095C8: 8048FF3C 0000007F
	s_lshr_b32 s72, s72, 7                                     // 0000000095D0: 8F488748
	s_and_b32 s72, 1, s72                                      // 0000000095D4: 86484881
	s_cmp_lt_i32 s72, 1                                        // 0000000095D8: BF048148
	s_cbranch_scc0 label_1A89                                  // 0000000095DC: BF8401D1
	s_waitcnt vmcnt(4)                                         // 0000000095E0: BF8C0F74
	s_barrier                                                  // 0000000095E4: BF8A0000
	ds_read_b64_tr_b16 a[144:145], v30                         // 0000000095E8: DBC60000 9000001E
	ds_read_b64_tr_b16 a[146:147], v30 offset:512              // 0000000095F0: DBC60200 9200001E
	ds_read_b64_tr_b16 a[148:149], v30 offset:2176             // 0000000095F8: DBC60880 9400001E
	ds_read_b64_tr_b16 a[150:151], v30 offset:2688             // 000000009600: DBC60A80 9600001E
	ds_read_b64_tr_b16 a[152:153], v30 offset:4352             // 000000009608: DBC61100 9800001E
	ds_read_b64_tr_b16 a[154:155], v30 offset:4864             // 000000009610: DBC61300 9A00001E
	ds_read_b64_tr_b16 a[156:157], v30 offset:6528             // 000000009618: DBC61980 9C00001E
	ds_read_b64_tr_b16 a[158:159], v30 offset:7040             // 000000009620: DBC61B80 9E00001E
	ds_read_b64_tr_b16 a[160:161], v30 offset:64               // 000000009628: DBC60040 A000001E
	ds_read_b64_tr_b16 a[162:163], v30 offset:576              // 000000009630: DBC60240 A200001E
	ds_read_b64_tr_b16 a[164:165], v30 offset:2240             // 000000009638: DBC608C0 A400001E
	ds_read_b64_tr_b16 a[166:167], v30 offset:2752             // 000000009640: DBC60AC0 A600001E
	ds_read_b64_tr_b16 a[168:169], v30 offset:4416             // 000000009648: DBC61140 A800001E
	ds_read_b64_tr_b16 a[170:171], v30 offset:4928             // 000000009650: DBC61340 AA00001E
	ds_read_b64_tr_b16 a[172:173], v30 offset:6592             // 000000009658: DBC619C0 AC00001E
	ds_read_b64_tr_b16 a[174:175], v30 offset:7104             // 000000009660: DBC61BC0 AE00001E
	ds_read_b64_tr_b16 a[176:177], v31                         // 000000009668: DBC60000 B000001F
	ds_read_b64_tr_b16 a[178:179], v31 offset:512              // 000000009670: DBC60200 B200001F
	ds_read_b64_tr_b16 a[180:181], v31 offset:2176             // 000000009678: DBC60880 B400001F
	ds_read_b64_tr_b16 a[182:183], v31 offset:2688             // 000000009680: DBC60A80 B600001F
	ds_read_b64_tr_b16 a[184:185], v31 offset:4352             // 000000009688: DBC61100 B800001F
	ds_read_b64_tr_b16 a[186:187], v31 offset:4864             // 000000009690: DBC61300 BA00001F
	ds_read_b64_tr_b16 a[188:189], v31 offset:6528             // 000000009698: DBC61980 BC00001F
	ds_read_b64_tr_b16 a[190:191], v31 offset:7040             // 0000000096A0: DBC61B80 BE00001F
	ds_read_b64_tr_b16 a[192:193], v31 offset:64               // 0000000096A8: DBC60040 C000001F
	ds_read_b64_tr_b16 a[194:195], v31 offset:576              // 0000000096B0: DBC60240 C200001F
	ds_read_b64_tr_b16 a[196:197], v31 offset:2240             // 0000000096B8: DBC608C0 C400001F
	ds_read_b64_tr_b16 a[198:199], v31 offset:2752             // 0000000096C0: DBC60AC0 C600001F
	ds_read_b64_tr_b16 a[200:201], v31 offset:4416             // 0000000096C8: DBC61140 C800001F
	ds_read_b64_tr_b16 a[202:203], v31 offset:4928             // 0000000096D0: DBC61340 CA00001F
	ds_read_b64_tr_b16 a[204:205], v31 offset:6592             // 0000000096D8: DBC619C0 CC00001F
	ds_read_b64_tr_b16 a[206:207], v31 offset:7104             // 0000000096E0: DBC61BC0 CE00001F
	v_exp_f32_e32 v97, v97                                     // 0000000096E8: 7EC24161
	v_exp_f32_e32 v98, v98                                     // 0000000096EC: 7EC44162
	v_exp_f32_e32 v99, v99                                     // 0000000096F0: 7EC64163
	v_exp_f32_e32 v100, v100                                   // 0000000096F4: 7EC84164
	v_exp_f32_e32 v101, v101                                   // 0000000096F8: 7ECA4165
	v_exp_f32_e32 v102, v102                                   // 0000000096FC: 7ECC4166
	v_exp_f32_e32 v103, v103                                   // 000000009700: 7ECE4167
	v_exp_f32_e32 v104, v104                                   // 000000009704: 7ED04168
	v_exp_f32_e32 v105, v105                                   // 000000009708: 7ED24169
	v_exp_f32_e32 v106, v106                                   // 00000000970C: 7ED4416A
	v_exp_f32_e32 v107, v107                                   // 000000009710: 7ED6416B
	v_exp_f32_e32 v108, v108                                   // 000000009714: 7ED8416C
	v_exp_f32_e32 v109, v109                                   // 000000009718: 7EDA416D
	v_exp_f32_e32 v110, v110                                   // 00000000971C: 7EDC416E
	v_exp_f32_e32 v111, v111                                   // 000000009720: 7EDE416F
	v_exp_f32_e32 v112, v112                                   // 000000009724: 7EE04170
	v_exp_f32_e32 v113, v113                                   // 000000009728: 7EE24171
	v_exp_f32_e32 v114, v114                                   // 00000000972C: 7EE44172
	v_exp_f32_e32 v115, v115                                   // 000000009730: 7EE64173
	v_exp_f32_e32 v116, v116                                   // 000000009734: 7EE84174
	v_exp_f32_e32 v117, v117                                   // 000000009738: 7EEA4175
	v_exp_f32_e32 v118, v118                                   // 00000000973C: 7EEC4176
	v_exp_f32_e32 v119, v119                                   // 000000009740: 7EEE4177
	v_exp_f32_e32 v120, v120                                   // 000000009744: 7EF04178
	v_exp_f32_e32 v121, v121                                   // 000000009748: 7EF24179
	v_exp_f32_e32 v122, v122                                   // 00000000974C: 7EF4417A
	v_exp_f32_e32 v123, v123                                   // 000000009750: 7EF6417B
	v_exp_f32_e32 v124, v124                                   // 000000009754: 7EF8417C
	v_exp_f32_e32 v125, v125                                   // 000000009758: 7EFA417D
	v_exp_f32_e32 v126, v126                                   // 00000000975C: 7EFC417E
	v_exp_f32_e32 v127, v127                                   // 000000009760: 7EFE417F
	v_exp_f32_e32 v128, v128                                   // 000000009764: 7F004180
	v_exp_f32_e32 v129, v129                                   // 000000009768: 7F024181
	v_exp_f32_e32 v130, v130                                   // 00000000976C: 7F044182
	v_exp_f32_e32 v131, v131                                   // 000000009770: 7F064183
	v_exp_f32_e32 v132, v132                                   // 000000009774: 7F084184
	v_exp_f32_e32 v133, v133                                   // 000000009778: 7F0A4185
	v_exp_f32_e32 v134, v134                                   // 00000000977C: 7F0C4186
	v_exp_f32_e32 v135, v135                                   // 000000009780: 7F0E4187
	v_exp_f32_e32 v136, v136                                   // 000000009784: 7F104188
	v_exp_f32_e32 v137, v137                                   // 000000009788: 7F124189
	v_exp_f32_e32 v138, v138                                   // 00000000978C: 7F14418A
	v_exp_f32_e32 v139, v139                                   // 000000009790: 7F16418B
	v_exp_f32_e32 v140, v140                                   // 000000009794: 7F18418C
	v_exp_f32_e32 v141, v141                                   // 000000009798: 7F1A418D
	v_exp_f32_e32 v142, v142                                   // 00000000979C: 7F1C418E
	v_exp_f32_e32 v143, v143                                   // 0000000097A0: 7F1E418F
	v_exp_f32_e32 v144, v144                                   // 0000000097A4: 7F204190
	v_exp_f32_e32 v145, v145                                   // 0000000097A8: 7F224191
	v_exp_f32_e32 v146, v146                                   // 0000000097AC: 7F244192
	v_exp_f32_e32 v147, v147                                   // 0000000097B0: 7F264193
	v_exp_f32_e32 v148, v148                                   // 0000000097B4: 7F284194
	v_exp_f32_e32 v149, v149                                   // 0000000097B8: 7F2A4195
	v_exp_f32_e32 v150, v150                                   // 0000000097BC: 7F2C4196
	v_exp_f32_e32 v151, v151                                   // 0000000097C0: 7F2E4197
	v_exp_f32_e32 v152, v152                                   // 0000000097C4: 7F304198
	v_exp_f32_e32 v153, v153                                   // 0000000097C8: 7F324199
	v_exp_f32_e32 v154, v154                                   // 0000000097CC: 7F34419A
	v_exp_f32_e32 v155, v155                                   // 0000000097D0: 7F36419B
	v_exp_f32_e32 v156, v156                                   // 0000000097D4: 7F38419C
	v_exp_f32_e32 v157, v157                                   // 0000000097D8: 7F3A419D
	v_exp_f32_e32 v158, v158                                   // 0000000097DC: 7F3C419E
	v_exp_f32_e32 v159, v159                                   // 0000000097E0: 7F3E419F
	v_mul_f32_e32 v232, v230, v232                             // 0000000097E4: 0BD1D1E6
	v_add_f32_e32 v234, v97, v96                               // 0000000097E8: 03D4C161
	v_add_f32_e32 v234, v98, v234                              // 0000000097EC: 03D5D562
	v_add_f32_e32 v234, v99, v234                              // 0000000097F0: 03D5D563
	v_add_f32_e32 v234, v100, v234                             // 0000000097F4: 03D5D564
	v_add_f32_e32 v234, v101, v234                             // 0000000097F8: 03D5D565
	v_add_f32_e32 v234, v102, v234                             // 0000000097FC: 03D5D566
	v_add_f32_e32 v234, v103, v234                             // 000000009800: 03D5D567
	v_add_f32_e32 v234, v104, v234                             // 000000009804: 03D5D568
	v_add_f32_e32 v234, v105, v234                             // 000000009808: 03D5D569
	v_add_f32_e32 v234, v106, v234                             // 00000000980C: 03D5D56A
	v_add_f32_e32 v234, v107, v234                             // 000000009810: 03D5D56B
	v_add_f32_e32 v234, v108, v234                             // 000000009814: 03D5D56C
	v_add_f32_e32 v234, v109, v234                             // 000000009818: 03D5D56D
	v_add_f32_e32 v234, v110, v234                             // 00000000981C: 03D5D56E
	v_add_f32_e32 v234, v111, v234                             // 000000009820: 03D5D56F
	v_add_f32_e32 v234, v112, v234                             // 000000009824: 03D5D570
	v_add_f32_e32 v234, v113, v234                             // 000000009828: 03D5D571
	v_add_f32_e32 v234, v114, v234                             // 00000000982C: 03D5D572
	v_add_f32_e32 v234, v115, v234                             // 000000009830: 03D5D573
	v_add_f32_e32 v234, v116, v234                             // 000000009834: 03D5D574
	v_add_f32_e32 v234, v117, v234                             // 000000009838: 03D5D575
	v_add_f32_e32 v234, v118, v234                             // 00000000983C: 03D5D576
	v_add_f32_e32 v234, v119, v234                             // 000000009840: 03D5D577
	v_add_f32_e32 v234, v120, v234                             // 000000009844: 03D5D578
	v_add_f32_e32 v234, v121, v234                             // 000000009848: 03D5D579
	v_add_f32_e32 v234, v122, v234                             // 00000000984C: 03D5D57A
	v_add_f32_e32 v234, v123, v234                             // 000000009850: 03D5D57B
	v_add_f32_e32 v234, v124, v234                             // 000000009854: 03D5D57C
	v_add_f32_e32 v234, v125, v234                             // 000000009858: 03D5D57D
	v_add_f32_e32 v234, v126, v234                             // 00000000985C: 03D5D57E
	v_add_f32_e32 v234, v127, v234                             // 000000009860: 03D5D57F
	v_nop                                                      // 000000009864: 7E000000
	v_cvt_pk_bf16_f32 v96, v96, v97                            // 000000009868: D2680060 0002C360
	v_cvt_pk_bf16_f32 v97, v98, v99                            // 000000009870: D2680061 0002C762
	v_cvt_pk_bf16_f32 v98, v100, v101                          // 000000009878: D2680062 0002CB64
	v_cvt_pk_bf16_f32 v99, v102, v103                          // 000000009880: D2680063 0002CF66
	v_cvt_pk_bf16_f32 v100, v104, v105                         // 000000009888: D2680064 0002D368
	v_cvt_pk_bf16_f32 v101, v106, v107                         // 000000009890: D2680065 0002D76A
	v_cvt_pk_bf16_f32 v102, v108, v109                         // 000000009898: D2680066 0002DB6C
	v_cvt_pk_bf16_f32 v103, v110, v111                         // 0000000098A0: D2680067 0002DF6E
	v_cvt_pk_bf16_f32 v104, v112, v113                         // 0000000098A8: D2680068 0002E370
	v_cvt_pk_bf16_f32 v105, v114, v115                         // 0000000098B0: D2680069 0002E772
	v_cvt_pk_bf16_f32 v106, v116, v117                         // 0000000098B8: D268006A 0002EB74
	v_cvt_pk_bf16_f32 v107, v118, v119                         // 0000000098C0: D268006B 0002EF76
	v_cvt_pk_bf16_f32 v108, v120, v121                         // 0000000098C8: D268006C 0002F378
	v_cvt_pk_bf16_f32 v109, v122, v123                         // 0000000098D0: D268006D 0002F77A
	v_cvt_pk_bf16_f32 v110, v124, v125                         // 0000000098D8: D268006E 0002FB7C
	v_cvt_pk_bf16_f32 v111, v126, v127                         // 0000000098E0: D268006F 0002FF7E
	v_nop                                                      // 0000000098E8: 7E000000
	v_mov_b32_e32 v235, 0                                      // 0000000098EC: 7FD60280
	v_pk_add_f32 v[234:235], v[128:129], v[234:235]            // 0000000098F0: D3B240EA 1803D580
	v_pk_add_f32 v[234:235], v[130:131], v[234:235]            // 0000000098F8: D3B240EA 1803D582
	v_pk_add_f32 v[234:235], v[132:133], v[234:235]            // 000000009900: D3B240EA 1803D584
	v_pk_add_f32 v[234:235], v[134:135], v[234:235]            // 000000009908: D3B240EA 1803D586
	v_pk_add_f32 v[234:235], v[136:137], v[234:235]            // 000000009910: D3B240EA 1803D588
	v_pk_add_f32 v[234:235], v[138:139], v[234:235]            // 000000009918: D3B240EA 1803D58A
	v_pk_add_f32 v[234:235], v[140:141], v[234:235]            // 000000009920: D3B240EA 1803D58C
	v_pk_add_f32 v[234:235], v[142:143], v[234:235]            // 000000009928: D3B240EA 1803D58E
	v_pk_add_f32 v[234:235], v[144:145], v[234:235]            // 000000009930: D3B240EA 1803D590
	v_pk_add_f32 v[234:235], v[146:147], v[234:235]            // 000000009938: D3B240EA 1803D592
	v_pk_add_f32 v[234:235], v[148:149], v[234:235]            // 000000009940: D3B240EA 1803D594
	v_pk_add_f32 v[234:235], v[150:151], v[234:235]            // 000000009948: D3B240EA 1803D596
	v_pk_add_f32 v[234:235], v[152:153], v[234:235]            // 000000009950: D3B240EA 1803D598
	v_pk_add_f32 v[234:235], v[154:155], v[234:235]            // 000000009958: D3B240EA 1803D59A
	v_pk_add_f32 v[234:235], v[156:157], v[234:235]            // 000000009960: D3B240EA 1803D59C
	v_pk_add_f32 v[234:235], v[158:159], v[234:235]            // 000000009968: D3B240EA 1803D59E
	v_add_f32_e32 v234, v234, v235                             // 000000009970: 03D5D7EA
	v_mov_b32_e32 v238, v234                                   // 000000009974: 7FDC03EA
	v_mul_f32_e32 v160, v230, v160                             // 000000009978: 0B4141E6
	v_mul_f32_e32 v161, v230, v161                             // 00000000997C: 0B4343E6
	v_permlane32_swap_b32_e32 v238, v234                       // 000000009980: 7FDCB5EA
	v_add_f32_e32 v238, v238, v234                             // 000000009984: 03DDD5EE
	v_add_f32_e32 v232, v238, v232                             // 000000009988: 03D1D1EE
	v_mov_b32_e32 v231, v230                                   // 00000000998C: 7FCE03E6
	v_cvt_pk_bf16_f32 v112, v128, v129                         // 000000009990: D2680070 00030380
	v_cvt_pk_bf16_f32 v113, v130, v131                         // 000000009998: D2680071 00030782
	v_cvt_pk_bf16_f32 v114, v132, v133                         // 0000000099A0: D2680072 00030B84
	v_cvt_pk_bf16_f32 v115, v134, v135                         // 0000000099A8: D2680073 00030F86
	v_cvt_pk_bf16_f32 v116, v136, v137                         // 0000000099B0: D2680074 00031388
	v_cvt_pk_bf16_f32 v117, v138, v139                         // 0000000099B8: D2680075 0003178A
	v_cvt_pk_bf16_f32 v118, v140, v141                         // 0000000099C0: D2680076 00031B8C
	v_cvt_pk_bf16_f32 v119, v142, v143                         // 0000000099C8: D2680077 00031F8E
	v_cvt_pk_bf16_f32 v120, v144, v145                         // 0000000099D0: D2680078 00032390
	v_cvt_pk_bf16_f32 v121, v146, v147                         // 0000000099D8: D2680079 00032792
	v_cvt_pk_bf16_f32 v122, v148, v149                         // 0000000099E0: D268007A 00032B94
	v_cvt_pk_bf16_f32 v123, v150, v151                         // 0000000099E8: D268007B 00032F96
	v_cvt_pk_bf16_f32 v124, v152, v153                         // 0000000099F0: D268007C 00033398
	v_cvt_pk_bf16_f32 v125, v154, v155                         // 0000000099F8: D268007D 0003379A
	v_cvt_pk_bf16_f32 v126, v156, v157                         // 000000009A00: D268007E 00033B9C
	v_cvt_pk_bf16_f32 v127, v158, v159                         // 000000009A08: D268007F 00033F9E
	v_pk_mul_f32 v[162:163], v[230:231], v[162:163]            // 000000009A10: D3B140A2 180345E6
	v_pk_mul_f32 v[164:165], v[230:231], v[164:165]            // 000000009A18: D3B140A4 180349E6
	v_pk_mul_f32 v[166:167], v[230:231], v[166:167]            // 000000009A20: D3B140A6 18034DE6
	v_pk_mul_f32 v[168:169], v[230:231], v[168:169]            // 000000009A28: D3B140A8 180351E6
	v_pk_mul_f32 v[170:171], v[230:231], v[170:171]            // 000000009A30: D3B140AA 180355E6
	v_pk_mul_f32 v[172:173], v[230:231], v[172:173]            // 000000009A38: D3B140AC 180359E6
	v_pk_mul_f32 v[174:175], v[230:231], v[174:175]            // 000000009A40: D3B140AE 18035DE6
	v_pk_mul_f32 v[176:177], v[230:231], v[176:177]            // 000000009A48: D3B140B0 180361E6
	v_pk_mul_f32 v[178:179], v[230:231], v[178:179]            // 000000009A50: D3B140B2 180365E6
	v_pk_mul_f32 v[180:181], v[230:231], v[180:181]            // 000000009A58: D3B140B4 180369E6
	v_pk_mul_f32 v[182:183], v[230:231], v[182:183]            // 000000009A60: D3B140B6 18036DE6
	v_pk_mul_f32 v[184:185], v[230:231], v[184:185]            // 000000009A68: D3B140B8 180371E6
	v_pk_mul_f32 v[186:187], v[230:231], v[186:187]            // 000000009A70: D3B140BA 180375E6
	v_pk_mul_f32 v[188:189], v[230:231], v[188:189]            // 000000009A78: D3B140BC 180379E6
	v_pk_mul_f32 v[190:191], v[230:231], v[190:191]            // 000000009A80: D3B140BE 18037DE6
	v_pk_mul_f32 v[192:193], v[230:231], v[192:193]            // 000000009A88: D3B140C0 180381E6
	v_pk_mul_f32 v[194:195], v[230:231], v[194:195]            // 000000009A90: D3B140C2 180385E6
	v_pk_mul_f32 v[196:197], v[230:231], v[196:197]            // 000000009A98: D3B140C4 180389E6
	v_pk_mul_f32 v[198:199], v[230:231], v[198:199]            // 000000009AA0: D3B140C6 18038DE6
	v_pk_mul_f32 v[200:201], v[230:231], v[200:201]            // 000000009AA8: D3B140C8 180391E6
	v_pk_mul_f32 v[202:203], v[230:231], v[202:203]            // 000000009AB0: D3B140CA 180395E6
	v_pk_mul_f32 v[204:205], v[230:231], v[204:205]            // 000000009AB8: D3B140CC 180399E6
	v_pk_mul_f32 v[206:207], v[230:231], v[206:207]            // 000000009AC0: D3B140CE 18039DE6
	v_pk_mul_f32 v[208:209], v[230:231], v[208:209]            // 000000009AC8: D3B140D0 1803A1E6
	v_pk_mul_f32 v[210:211], v[230:231], v[210:211]            // 000000009AD0: D3B140D2 1803A5E6
	v_pk_mul_f32 v[212:213], v[230:231], v[212:213]            // 000000009AD8: D3B140D4 1803A9E6
	v_pk_mul_f32 v[214:215], v[230:231], v[214:215]            // 000000009AE0: D3B140D6 1803ADE6
	v_pk_mul_f32 v[216:217], v[230:231], v[216:217]            // 000000009AE8: D3B140D8 1803B1E6
	v_pk_mul_f32 v[218:219], v[230:231], v[218:219]            // 000000009AF0: D3B140DA 1803B5E6
	v_pk_mul_f32 v[220:221], v[230:231], v[220:221]            // 000000009AF8: D3B140DC 1803B9E6
	v_pk_mul_f32 v[222:223], v[230:231], v[222:223]            // 000000009B00: D3B140DE 1803BDE6
	s_nop 0                                                    // 000000009B08: BF800000
	s_waitcnt lgkmcnt(0)                                       // 000000009B0C: BF8CC07F
	v_mfma_f32_32x32x16_bf16 v[160:175], a[144:147], v[96:99], v[160:175]// 000000009B10: D3B700A0 0E82C190
	v_mfma_f32_32x32x16_bf16 v[160:175], a[148:151], v[100:103], v[160:175]// 000000009B18: D3B700A0 0E82C994
	v_mfma_f32_32x32x16_bf16 v[160:175], a[152:155], v[104:107], v[160:175]// 000000009B20: D3B700A0 0E82D198
	v_mfma_f32_32x32x16_bf16 v[160:175], a[156:159], v[108:111], v[160:175]// 000000009B28: D3B700A0 0E82D99C
	v_mfma_f32_32x32x16_bf16 v[176:191], a[160:163], v[96:99], v[176:191]// 000000009B30: D3B700B0 0EC2C1A0
	v_mfma_f32_32x32x16_bf16 v[176:191], a[164:167], v[100:103], v[176:191]// 000000009B38: D3B700B0 0EC2C9A4
	v_mfma_f32_32x32x16_bf16 v[176:191], a[168:171], v[104:107], v[176:191]// 000000009B40: D3B700B0 0EC2D1A8
	v_mfma_f32_32x32x16_bf16 v[176:191], a[172:175], v[108:111], v[176:191]// 000000009B48: D3B700B0 0EC2D9AC
	v_mfma_f32_32x32x16_bf16 v[192:207], a[176:179], v[96:99], v[192:207]// 000000009B50: D3B700C0 0F02C1B0
	v_mfma_f32_32x32x16_bf16 v[192:207], a[180:183], v[100:103], v[192:207]// 000000009B58: D3B700C0 0F02C9B4
	v_mfma_f32_32x32x16_bf16 v[192:207], a[184:187], v[104:107], v[192:207]// 000000009B60: D3B700C0 0F02D1B8
	v_mfma_f32_32x32x16_bf16 v[192:207], a[188:191], v[108:111], v[192:207]// 000000009B68: D3B700C0 0F02D9BC
	v_mfma_f32_32x32x16_bf16 v[208:223], a[192:195], v[96:99], v[208:223]// 000000009B70: D3B700D0 0F42C1C0
	v_mfma_f32_32x32x16_bf16 v[208:223], a[196:199], v[100:103], v[208:223]// 000000009B78: D3B700D0 0F42C9C4
	v_mfma_f32_32x32x16_bf16 v[208:223], a[200:203], v[104:107], v[208:223]// 000000009B80: D3B700D0 0F42D1C8
	v_mfma_f32_32x32x16_bf16 v[208:223], a[204:207], v[108:111], v[208:223]// 000000009B88: D3B700D0 0F42D9CC
	s_waitcnt vmcnt(0) expcnt(0) lgkmcnt(0)                    // 000000009B90: BF8C0000
	s_barrier                                                  // 000000009B94: BF8A0000
	ds_read_b64_tr_b16 a[144:145], v30 offset:17408            // 000000009B98: DBC64400 9000001E
	ds_read_b64_tr_b16 a[146:147], v30 offset:17920            // 000000009BA0: DBC64600 9200001E
	ds_read_b64_tr_b16 a[148:149], v30 offset:19584            // 000000009BA8: DBC64C80 9400001E
	ds_read_b64_tr_b16 a[150:151], v30 offset:20096            // 000000009BB0: DBC64E80 9600001E
	ds_read_b64_tr_b16 a[152:153], v30 offset:21760            // 000000009BB8: DBC65500 9800001E
	ds_read_b64_tr_b16 a[154:155], v30 offset:22272            // 000000009BC0: DBC65700 9A00001E
	ds_read_b64_tr_b16 a[156:157], v30 offset:23936            // 000000009BC8: DBC65D80 9C00001E
	ds_read_b64_tr_b16 a[158:159], v30 offset:24448            // 000000009BD0: DBC65F80 9E00001E
	ds_read_b64_tr_b16 a[160:161], v30 offset:17472            // 000000009BD8: DBC64440 A000001E
	ds_read_b64_tr_b16 a[162:163], v30 offset:17984            // 000000009BE0: DBC64640 A200001E
	ds_read_b64_tr_b16 a[164:165], v30 offset:19648            // 000000009BE8: DBC64CC0 A400001E
	ds_read_b64_tr_b16 a[166:167], v30 offset:20160            // 000000009BF0: DBC64EC0 A600001E
	ds_read_b64_tr_b16 a[168:169], v30 offset:21824            // 000000009BF8: DBC65540 A800001E
	ds_read_b64_tr_b16 a[170:171], v30 offset:22336            // 000000009C00: DBC65740 AA00001E
	ds_read_b64_tr_b16 a[172:173], v30 offset:24000            // 000000009C08: DBC65DC0 AC00001E
	ds_read_b64_tr_b16 a[174:175], v30 offset:24512            // 000000009C10: DBC65FC0 AE00001E
	ds_read_b64_tr_b16 a[176:177], v31 offset:17408            // 000000009C18: DBC64400 B000001F
	ds_read_b64_tr_b16 a[178:179], v31 offset:17920            // 000000009C20: DBC64600 B200001F
	ds_read_b64_tr_b16 a[180:181], v31 offset:19584            // 000000009C28: DBC64C80 B400001F
	ds_read_b64_tr_b16 a[182:183], v31 offset:20096            // 000000009C30: DBC64E80 B600001F
	ds_read_b64_tr_b16 a[184:185], v31 offset:21760            // 000000009C38: DBC65500 B800001F
	ds_read_b64_tr_b16 a[186:187], v31 offset:22272            // 000000009C40: DBC65700 BA00001F
	ds_read_b64_tr_b16 a[188:189], v31 offset:23936            // 000000009C48: DBC65D80 BC00001F
	ds_read_b64_tr_b16 a[190:191], v31 offset:24448            // 000000009C50: DBC65F80 BE00001F
	ds_read_b64_tr_b16 a[192:193], v31 offset:17472            // 000000009C58: DBC64440 C000001F
	ds_read_b64_tr_b16 a[194:195], v31 offset:17984            // 000000009C60: DBC64640 C200001F
	ds_read_b64_tr_b16 a[196:197], v31 offset:19648            // 000000009C68: DBC64CC0 C400001F
	ds_read_b64_tr_b16 a[198:199], v31 offset:20160            // 000000009C70: DBC64EC0 C600001F
	ds_read_b64_tr_b16 a[200:201], v31 offset:21824            // 000000009C78: DBC65540 C800001F
	ds_read_b64_tr_b16 a[202:203], v31 offset:22336            // 000000009C80: DBC65740 CA00001F
	ds_read_b64_tr_b16 a[204:205], v31 offset:24000            // 000000009C88: DBC65DC0 CC00001F
	ds_read_b64_tr_b16 a[206:207], v31 offset:24512            // 000000009C90: DBC65FC0 CE00001F
	s_waitcnt lgkmcnt(0)                                       // 000000009C98: BF8CC07F
	s_nop 0                                                    // 000000009C9C: BF800000
	v_mfma_f32_32x32x16_bf16 v[160:175], a[144:147], v[112:115], v[160:175]// 000000009CA0: D3B700A0 0E82E190
	v_mfma_f32_32x32x16_bf16 v[160:175], a[148:151], v[116:119], v[160:175]// 000000009CA8: D3B700A0 0E82E994
	v_mfma_f32_32x32x16_bf16 v[160:175], a[152:155], v[120:123], v[160:175]// 000000009CB0: D3B700A0 0E82F198
	v_mfma_f32_32x32x16_bf16 v[160:175], a[156:159], v[124:127], v[160:175]// 000000009CB8: D3B700A0 0E82F99C
	v_mfma_f32_32x32x16_bf16 v[176:191], a[160:163], v[112:115], v[176:191]// 000000009CC0: D3B700B0 0EC2E1A0
	v_mfma_f32_32x32x16_bf16 v[176:191], a[164:167], v[116:119], v[176:191]// 000000009CC8: D3B700B0 0EC2E9A4
	v_mfma_f32_32x32x16_bf16 v[176:191], a[168:171], v[120:123], v[176:191]// 000000009CD0: D3B700B0 0EC2F1A8
	v_mfma_f32_32x32x16_bf16 v[176:191], a[172:175], v[124:127], v[176:191]// 000000009CD8: D3B700B0 0EC2F9AC
	v_mfma_f32_32x32x16_bf16 v[192:207], a[176:179], v[112:115], v[192:207]// 000000009CE0: D3B700C0 0F02E1B0
	v_mfma_f32_32x32x16_bf16 v[192:207], a[180:183], v[116:119], v[192:207]// 000000009CE8: D3B700C0 0F02E9B4
	v_mfma_f32_32x32x16_bf16 v[192:207], a[184:187], v[120:123], v[192:207]// 000000009CF0: D3B700C0 0F02F1B8
	v_mfma_f32_32x32x16_bf16 v[192:207], a[188:191], v[124:127], v[192:207]// 000000009CF8: D3B700C0 0F02F9BC
	v_mfma_f32_32x32x16_bf16 v[208:223], a[192:195], v[112:115], v[208:223]// 000000009D00: D3B700D0 0F42E1C0
	v_mfma_f32_32x32x16_bf16 v[208:223], a[196:199], v[116:119], v[208:223]// 000000009D08: D3B700D0 0F42E9C4
	v_mfma_f32_32x32x16_bf16 v[208:223], a[200:203], v[120:123], v[208:223]// 000000009D10: D3B700D0 0F42F1C8
	v_mfma_f32_32x32x16_bf16 v[208:223], a[204:207], v[124:127], v[208:223]// 000000009D18: D3B700D0 0F42F9CC
	s_branch label_1C5A                                        // 000000009D20: BF8201D1

0000000000009d24 <label_1A89>:
	s_waitcnt vmcnt(4)                                         // 000000009D24: BF8C0F74
	s_barrier                                                  // 000000009D28: BF8A0000
	s_nop 0                                                    // 000000009D2C: BF800000
	ds_read_b64_tr_b16 a[144:145], v30                         // 000000009D30: DBC60000 9000001E
	ds_read_b64_tr_b16 a[146:147], v30 offset:512              // 000000009D38: DBC60200 9200001E
	ds_read_b64_tr_b16 a[148:149], v30 offset:2176             // 000000009D40: DBC60880 9400001E
	ds_read_b64_tr_b16 a[150:151], v30 offset:2688             // 000000009D48: DBC60A80 9600001E
	ds_read_b64_tr_b16 a[152:153], v30 offset:4352             // 000000009D50: DBC61100 9800001E
	ds_read_b64_tr_b16 a[154:155], v30 offset:4864             // 000000009D58: DBC61300 9A00001E
	ds_read_b64_tr_b16 a[156:157], v30 offset:6528             // 000000009D60: DBC61980 9C00001E
	ds_read_b64_tr_b16 a[158:159], v30 offset:7040             // 000000009D68: DBC61B80 9E00001E
	ds_read_b64_tr_b16 a[160:161], v30 offset:64               // 000000009D70: DBC60040 A000001E
	ds_read_b64_tr_b16 a[162:163], v30 offset:576              // 000000009D78: DBC60240 A200001E
	ds_read_b64_tr_b16 a[164:165], v30 offset:2240             // 000000009D80: DBC608C0 A400001E
	ds_read_b64_tr_b16 a[166:167], v30 offset:2752             // 000000009D88: DBC60AC0 A600001E
	ds_read_b64_tr_b16 a[168:169], v30 offset:4416             // 000000009D90: DBC61140 A800001E
	ds_read_b64_tr_b16 a[170:171], v30 offset:4928             // 000000009D98: DBC61340 AA00001E
	ds_read_b64_tr_b16 a[172:173], v30 offset:6592             // 000000009DA0: DBC619C0 AC00001E
	ds_read_b64_tr_b16 a[174:175], v30 offset:7104             // 000000009DA8: DBC61BC0 AE00001E
	ds_read_b64_tr_b16 a[176:177], v31                         // 000000009DB0: DBC60000 B000001F
	ds_read_b64_tr_b16 a[178:179], v31 offset:512              // 000000009DB8: DBC60200 B200001F
	ds_read_b64_tr_b16 a[180:181], v31 offset:2176             // 000000009DC0: DBC60880 B400001F
	ds_read_b64_tr_b16 a[182:183], v31 offset:2688             // 000000009DC8: DBC60A80 B600001F
	ds_read_b64_tr_b16 a[184:185], v31 offset:4352             // 000000009DD0: DBC61100 B800001F
	ds_read_b64_tr_b16 a[186:187], v31 offset:4864             // 000000009DD8: DBC61300 BA00001F
	ds_read_b64_tr_b16 a[188:189], v31 offset:6528             // 000000009DE0: DBC61980 BC00001F
	ds_read_b64_tr_b16 a[190:191], v31 offset:7040             // 000000009DE8: DBC61B80 BE00001F
	ds_read_b64_tr_b16 a[192:193], v31 offset:64               // 000000009DF0: DBC60040 C000001F
	ds_read_b64_tr_b16 a[194:195], v31 offset:576              // 000000009DF8: DBC60240 C200001F
	ds_read_b64_tr_b16 a[196:197], v31 offset:2240             // 000000009E00: DBC608C0 C400001F
	ds_read_b64_tr_b16 a[198:199], v31 offset:2752             // 000000009E08: DBC60AC0 C600001F
	ds_read_b64_tr_b16 a[200:201], v31 offset:4416             // 000000009E10: DBC61140 C800001F
	ds_read_b64_tr_b16 a[202:203], v31 offset:4928             // 000000009E18: DBC61340 CA00001F
	ds_read_b64_tr_b16 a[204:205], v31 offset:6592             // 000000009E20: DBC619C0 CC00001F
	ds_read_b64_tr_b16 a[206:207], v31 offset:7104             // 000000009E28: DBC61BC0 CE00001F
	v_exp_f32_e32 v33, v33                                     // 000000009E30: 7E424121
	v_exp_f32_e32 v34, v34                                     // 000000009E34: 7E444122
	v_exp_f32_e32 v35, v35                                     // 000000009E38: 7E464123
	v_exp_f32_e32 v36, v36                                     // 000000009E3C: 7E484124
	v_exp_f32_e32 v37, v37                                     // 000000009E40: 7E4A4125
	v_exp_f32_e32 v38, v38                                     // 000000009E44: 7E4C4126
	v_exp_f32_e32 v39, v39                                     // 000000009E48: 7E4E4127
	v_exp_f32_e32 v40, v40                                     // 000000009E4C: 7E504128
	v_exp_f32_e32 v41, v41                                     // 000000009E50: 7E524129
	v_exp_f32_e32 v42, v42                                     // 000000009E54: 7E54412A
	v_exp_f32_e32 v43, v43                                     // 000000009E58: 7E56412B
	v_exp_f32_e32 v44, v44                                     // 000000009E5C: 7E58412C
	v_exp_f32_e32 v45, v45                                     // 000000009E60: 7E5A412D
	v_exp_f32_e32 v46, v46                                     // 000000009E64: 7E5C412E
	v_exp_f32_e32 v47, v47                                     // 000000009E68: 7E5E412F
	v_exp_f32_e32 v48, v48                                     // 000000009E6C: 7E604130
	v_exp_f32_e32 v49, v49                                     // 000000009E70: 7E624131
	v_exp_f32_e32 v50, v50                                     // 000000009E74: 7E644132
	v_exp_f32_e32 v51, v51                                     // 000000009E78: 7E664133
	v_exp_f32_e32 v52, v52                                     // 000000009E7C: 7E684134
	v_exp_f32_e32 v53, v53                                     // 000000009E80: 7E6A4135
	v_exp_f32_e32 v54, v54                                     // 000000009E84: 7E6C4136
	v_exp_f32_e32 v55, v55                                     // 000000009E88: 7E6E4137
	v_exp_f32_e32 v56, v56                                     // 000000009E8C: 7E704138
	v_exp_f32_e32 v57, v57                                     // 000000009E90: 7E724139
	v_exp_f32_e32 v58, v58                                     // 000000009E94: 7E74413A
	v_exp_f32_e32 v59, v59                                     // 000000009E98: 7E76413B
	v_exp_f32_e32 v60, v60                                     // 000000009E9C: 7E78413C
	v_exp_f32_e32 v61, v61                                     // 000000009EA0: 7E7A413D
	v_exp_f32_e32 v62, v62                                     // 000000009EA4: 7E7C413E
	v_exp_f32_e32 v63, v63                                     // 000000009EA8: 7E7E413F
	v_exp_f32_e32 v64, v64                                     // 000000009EAC: 7E804140
	v_exp_f32_e32 v65, v65                                     // 000000009EB0: 7E824141
	v_exp_f32_e32 v66, v66                                     // 000000009EB4: 7E844142
	v_exp_f32_e32 v67, v67                                     // 000000009EB8: 7E864143
	v_exp_f32_e32 v68, v68                                     // 000000009EBC: 7E884144
	v_exp_f32_e32 v69, v69                                     // 000000009EC0: 7E8A4145
	v_exp_f32_e32 v70, v70                                     // 000000009EC4: 7E8C4146
	v_exp_f32_e32 v71, v71                                     // 000000009EC8: 7E8E4147
	v_exp_f32_e32 v72, v72                                     // 000000009ECC: 7E904148
	v_exp_f32_e32 v73, v73                                     // 000000009ED0: 7E924149
	v_exp_f32_e32 v74, v74                                     // 000000009ED4: 7E94414A
	v_exp_f32_e32 v75, v75                                     // 000000009ED8: 7E96414B
	v_exp_f32_e32 v76, v76                                     // 000000009EDC: 7E98414C
	v_exp_f32_e32 v77, v77                                     // 000000009EE0: 7E9A414D
	v_exp_f32_e32 v78, v78                                     // 000000009EE4: 7E9C414E
	v_exp_f32_e32 v79, v79                                     // 000000009EE8: 7E9E414F
	v_exp_f32_e32 v80, v80                                     // 000000009EEC: 7EA04150
	v_exp_f32_e32 v81, v81                                     // 000000009EF0: 7EA24151
	v_exp_f32_e32 v82, v82                                     // 000000009EF4: 7EA44152
	v_exp_f32_e32 v83, v83                                     // 000000009EF8: 7EA64153
	v_exp_f32_e32 v84, v84                                     // 000000009EFC: 7EA84154
	v_exp_f32_e32 v85, v85                                     // 000000009F00: 7EAA4155
	v_exp_f32_e32 v86, v86                                     // 000000009F04: 7EAC4156
	v_exp_f32_e32 v87, v87                                     // 000000009F08: 7EAE4157
	v_exp_f32_e32 v88, v88                                     // 000000009F0C: 7EB04158
	v_exp_f32_e32 v89, v89                                     // 000000009F10: 7EB24159
	v_exp_f32_e32 v90, v90                                     // 000000009F14: 7EB4415A
	v_exp_f32_e32 v91, v91                                     // 000000009F18: 7EB6415B
	v_exp_f32_e32 v92, v92                                     // 000000009F1C: 7EB8415C
	v_exp_f32_e32 v93, v93                                     // 000000009F20: 7EBA415D
	v_exp_f32_e32 v94, v94                                     // 000000009F24: 7EBC415E
	v_exp_f32_e32 v95, v95                                     // 000000009F28: 7EBE415F
	v_mul_f32_e32 v232, v230, v232                             // 000000009F2C: 0BD1D1E6
	v_add_f32_e32 v234, v33, v32                               // 000000009F30: 03D44121
	v_add_f32_e32 v234, v34, v234                              // 000000009F34: 03D5D522
	v_add_f32_e32 v234, v35, v234                              // 000000009F38: 03D5D523
	v_add_f32_e32 v234, v36, v234                              // 000000009F3C: 03D5D524
	v_add_f32_e32 v234, v37, v234                              // 000000009F40: 03D5D525
	v_add_f32_e32 v234, v38, v234                              // 000000009F44: 03D5D526
	v_add_f32_e32 v234, v39, v234                              // 000000009F48: 03D5D527
	v_add_f32_e32 v234, v40, v234                              // 000000009F4C: 03D5D528
	v_add_f32_e32 v234, v41, v234                              // 000000009F50: 03D5D529
	v_add_f32_e32 v234, v42, v234                              // 000000009F54: 03D5D52A
	v_add_f32_e32 v234, v43, v234                              // 000000009F58: 03D5D52B
	v_add_f32_e32 v234, v44, v234                              // 000000009F5C: 03D5D52C
	v_add_f32_e32 v234, v45, v234                              // 000000009F60: 03D5D52D
	v_add_f32_e32 v234, v46, v234                              // 000000009F64: 03D5D52E
	v_add_f32_e32 v234, v47, v234                              // 000000009F68: 03D5D52F
	v_add_f32_e32 v234, v48, v234                              // 000000009F6C: 03D5D530
	v_add_f32_e32 v234, v49, v234                              // 000000009F70: 03D5D531
	v_add_f32_e32 v234, v50, v234                              // 000000009F74: 03D5D532
	v_add_f32_e32 v234, v51, v234                              // 000000009F78: 03D5D533
	v_add_f32_e32 v234, v52, v234                              // 000000009F7C: 03D5D534
	v_add_f32_e32 v234, v53, v234                              // 000000009F80: 03D5D535
	v_add_f32_e32 v234, v54, v234                              // 000000009F84: 03D5D536
	v_add_f32_e32 v234, v55, v234                              // 000000009F88: 03D5D537
	v_add_f32_e32 v234, v56, v234                              // 000000009F8C: 03D5D538
	v_add_f32_e32 v234, v57, v234                              // 000000009F90: 03D5D539
	v_add_f32_e32 v234, v58, v234                              // 000000009F94: 03D5D53A
	v_add_f32_e32 v234, v59, v234                              // 000000009F98: 03D5D53B
	v_add_f32_e32 v234, v60, v234                              // 000000009F9C: 03D5D53C
	v_add_f32_e32 v234, v61, v234                              // 000000009FA0: 03D5D53D
	v_add_f32_e32 v234, v62, v234                              // 000000009FA4: 03D5D53E
	v_add_f32_e32 v234, v63, v234                              // 000000009FA8: 03D5D53F
	v_nop                                                      // 000000009FAC: 7E000000
	v_cvt_pk_bf16_f32 v32, v32, v33                            // 000000009FB0: D2680020 00024320
	v_cvt_pk_bf16_f32 v33, v34, v35                            // 000000009FB8: D2680021 00024722
	v_cvt_pk_bf16_f32 v34, v36, v37                            // 000000009FC0: D2680022 00024B24
	v_cvt_pk_bf16_f32 v35, v38, v39                            // 000000009FC8: D2680023 00024F26
	v_cvt_pk_bf16_f32 v36, v40, v41                            // 000000009FD0: D2680024 00025328
	v_cvt_pk_bf16_f32 v37, v42, v43                            // 000000009FD8: D2680025 0002572A
	v_cvt_pk_bf16_f32 v38, v44, v45                            // 000000009FE0: D2680026 00025B2C
	v_cvt_pk_bf16_f32 v39, v46, v47                            // 000000009FE8: D2680027 00025F2E
	v_cvt_pk_bf16_f32 v40, v48, v49                            // 000000009FF0: D2680028 00026330
	v_cvt_pk_bf16_f32 v41, v50, v51                            // 000000009FF8: D2680029 00026732
	v_cvt_pk_bf16_f32 v42, v52, v53                            // 00000000A000: D268002A 00026B34
	v_cvt_pk_bf16_f32 v43, v54, v55                            // 00000000A008: D268002B 00026F36
	v_cvt_pk_bf16_f32 v44, v56, v57                            // 00000000A010: D268002C 00027338
	v_cvt_pk_bf16_f32 v45, v58, v59                            // 00000000A018: D268002D 0002773A
	v_cvt_pk_bf16_f32 v46, v60, v61                            // 00000000A020: D268002E 00027B3C
	v_cvt_pk_bf16_f32 v47, v62, v63                            // 00000000A028: D268002F 00027F3E
	v_nop                                                      // 00000000A030: 7E000000
	v_mov_b32_e32 v235, 0                                      // 00000000A034: 7FD60280
	v_pk_add_f32 v[234:235], v[64:65], v[234:235]              // 00000000A038: D3B240EA 1803D540
	v_pk_add_f32 v[234:235], v[66:67], v[234:235]              // 00000000A040: D3B240EA 1803D542
	v_pk_add_f32 v[234:235], v[68:69], v[234:235]              // 00000000A048: D3B240EA 1803D544
	v_pk_add_f32 v[234:235], v[70:71], v[234:235]              // 00000000A050: D3B240EA 1803D546
	v_pk_add_f32 v[234:235], v[72:73], v[234:235]              // 00000000A058: D3B240EA 1803D548
	v_pk_add_f32 v[234:235], v[74:75], v[234:235]              // 00000000A060: D3B240EA 1803D54A
	v_pk_add_f32 v[234:235], v[76:77], v[234:235]              // 00000000A068: D3B240EA 1803D54C
	v_pk_add_f32 v[234:235], v[78:79], v[234:235]              // 00000000A070: D3B240EA 1803D54E
	v_pk_add_f32 v[234:235], v[80:81], v[234:235]              // 00000000A078: D3B240EA 1803D550
	v_pk_add_f32 v[234:235], v[82:83], v[234:235]              // 00000000A080: D3B240EA 1803D552
	v_pk_add_f32 v[234:235], v[84:85], v[234:235]              // 00000000A088: D3B240EA 1803D554
	v_pk_add_f32 v[234:235], v[86:87], v[234:235]              // 00000000A090: D3B240EA 1803D556
	v_pk_add_f32 v[234:235], v[88:89], v[234:235]              // 00000000A098: D3B240EA 1803D558
	v_pk_add_f32 v[234:235], v[90:91], v[234:235]              // 00000000A0A0: D3B240EA 1803D55A
	v_pk_add_f32 v[234:235], v[92:93], v[234:235]              // 00000000A0A8: D3B240EA 1803D55C
	v_pk_add_f32 v[234:235], v[94:95], v[234:235]              // 00000000A0B0: D3B240EA 1803D55E
	v_add_f32_e32 v234, v234, v235                             // 00000000A0B8: 03D5D7EA
	v_mov_b32_e32 v238, v234                                   // 00000000A0BC: 7FDC03EA
	v_mul_f32_e32 v160, v230, v160                             // 00000000A0C0: 0B4141E6
	v_mul_f32_e32 v161, v230, v161                             // 00000000A0C4: 0B4343E6
	v_permlane32_swap_b32_e32 v238, v234                       // 00000000A0C8: 7FDCB5EA
	v_add_f32_e32 v238, v238, v234                             // 00000000A0CC: 03DDD5EE
	v_add_f32_e32 v232, v238, v232                             // 00000000A0D0: 03D1D1EE
	v_mov_b32_e32 v231, v230                                   // 00000000A0D4: 7FCE03E6
	v_cvt_pk_bf16_f32 v48, v64, v65                            // 00000000A0D8: D2680030 00028340
	v_cvt_pk_bf16_f32 v49, v66, v67                            // 00000000A0E0: D2680031 00028742
	v_cvt_pk_bf16_f32 v50, v68, v69                            // 00000000A0E8: D2680032 00028B44
	v_cvt_pk_bf16_f32 v51, v70, v71                            // 00000000A0F0: D2680033 00028F46
	v_cvt_pk_bf16_f32 v52, v72, v73                            // 00000000A0F8: D2680034 00029348
	v_cvt_pk_bf16_f32 v53, v74, v75                            // 00000000A100: D2680035 0002974A
	v_cvt_pk_bf16_f32 v54, v76, v77                            // 00000000A108: D2680036 00029B4C
	v_cvt_pk_bf16_f32 v55, v78, v79                            // 00000000A110: D2680037 00029F4E
	v_cvt_pk_bf16_f32 v56, v80, v81                            // 00000000A118: D2680038 0002A350
	v_cvt_pk_bf16_f32 v57, v82, v83                            // 00000000A120: D2680039 0002A752
	v_cvt_pk_bf16_f32 v58, v84, v85                            // 00000000A128: D268003A 0002AB54
	v_cvt_pk_bf16_f32 v59, v86, v87                            // 00000000A130: D268003B 0002AF56
	v_cvt_pk_bf16_f32 v60, v88, v89                            // 00000000A138: D268003C 0002B358
	v_cvt_pk_bf16_f32 v61, v90, v91                            // 00000000A140: D268003D 0002B75A
	v_cvt_pk_bf16_f32 v62, v92, v93                            // 00000000A148: D268003E 0002BB5C
	v_cvt_pk_bf16_f32 v63, v94, v95                            // 00000000A150: D268003F 0002BF5E
	v_pk_mul_f32 v[162:163], v[230:231], v[162:163]            // 00000000A158: D3B140A2 180345E6
	v_pk_mul_f32 v[164:165], v[230:231], v[164:165]            // 00000000A160: D3B140A4 180349E6
	v_pk_mul_f32 v[166:167], v[230:231], v[166:167]            // 00000000A168: D3B140A6 18034DE6
	v_pk_mul_f32 v[168:169], v[230:231], v[168:169]            // 00000000A170: D3B140A8 180351E6
	v_pk_mul_f32 v[170:171], v[230:231], v[170:171]            // 00000000A178: D3B140AA 180355E6
	v_pk_mul_f32 v[172:173], v[230:231], v[172:173]            // 00000000A180: D3B140AC 180359E6
	v_pk_mul_f32 v[174:175], v[230:231], v[174:175]            // 00000000A188: D3B140AE 18035DE6
	v_pk_mul_f32 v[176:177], v[230:231], v[176:177]            // 00000000A190: D3B140B0 180361E6
	v_pk_mul_f32 v[178:179], v[230:231], v[178:179]            // 00000000A198: D3B140B2 180365E6
	v_pk_mul_f32 v[180:181], v[230:231], v[180:181]            // 00000000A1A0: D3B140B4 180369E6
	v_pk_mul_f32 v[182:183], v[230:231], v[182:183]            // 00000000A1A8: D3B140B6 18036DE6
	v_pk_mul_f32 v[184:185], v[230:231], v[184:185]            // 00000000A1B0: D3B140B8 180371E6
	v_pk_mul_f32 v[186:187], v[230:231], v[186:187]            // 00000000A1B8: D3B140BA 180375E6
	v_pk_mul_f32 v[188:189], v[230:231], v[188:189]            // 00000000A1C0: D3B140BC 180379E6
	v_pk_mul_f32 v[190:191], v[230:231], v[190:191]            // 00000000A1C8: D3B140BE 18037DE6
	v_pk_mul_f32 v[192:193], v[230:231], v[192:193]            // 00000000A1D0: D3B140C0 180381E6
	v_pk_mul_f32 v[194:195], v[230:231], v[194:195]            // 00000000A1D8: D3B140C2 180385E6
	v_pk_mul_f32 v[196:197], v[230:231], v[196:197]            // 00000000A1E0: D3B140C4 180389E6
	v_pk_mul_f32 v[198:199], v[230:231], v[198:199]            // 00000000A1E8: D3B140C6 18038DE6
	v_pk_mul_f32 v[200:201], v[230:231], v[200:201]            // 00000000A1F0: D3B140C8 180391E6
	v_pk_mul_f32 v[202:203], v[230:231], v[202:203]            // 00000000A1F8: D3B140CA 180395E6
	v_pk_mul_f32 v[204:205], v[230:231], v[204:205]            // 00000000A200: D3B140CC 180399E6
	v_pk_mul_f32 v[206:207], v[230:231], v[206:207]            // 00000000A208: D3B140CE 18039DE6
	v_pk_mul_f32 v[208:209], v[230:231], v[208:209]            // 00000000A210: D3B140D0 1803A1E6
	v_pk_mul_f32 v[210:211], v[230:231], v[210:211]            // 00000000A218: D3B140D2 1803A5E6
	v_pk_mul_f32 v[212:213], v[230:231], v[212:213]            // 00000000A220: D3B140D4 1803A9E6
	v_pk_mul_f32 v[214:215], v[230:231], v[214:215]            // 00000000A228: D3B140D6 1803ADE6
	v_pk_mul_f32 v[216:217], v[230:231], v[216:217]            // 00000000A230: D3B140D8 1803B1E6
	v_pk_mul_f32 v[218:219], v[230:231], v[218:219]            // 00000000A238: D3B140DA 1803B5E6
	v_pk_mul_f32 v[220:221], v[230:231], v[220:221]            // 00000000A240: D3B140DC 1803B9E6
	v_pk_mul_f32 v[222:223], v[230:231], v[222:223]            // 00000000A248: D3B140DE 1803BDE6
	s_nop 0                                                    // 00000000A250: BF800000
	s_waitcnt lgkmcnt(0)                                       // 00000000A254: BF8CC07F
	v_mfma_f32_32x32x16_bf16 v[160:175], a[144:147], v[32:35], v[160:175]// 00000000A258: D3B700A0 0E824190
	v_mfma_f32_32x32x16_bf16 v[160:175], a[148:151], v[36:39], v[160:175]// 00000000A260: D3B700A0 0E824994
	v_mfma_f32_32x32x16_bf16 v[160:175], a[152:155], v[40:43], v[160:175]// 00000000A268: D3B700A0 0E825198
	v_mfma_f32_32x32x16_bf16 v[160:175], a[156:159], v[44:47], v[160:175]// 00000000A270: D3B700A0 0E82599C
	v_mfma_f32_32x32x16_bf16 v[176:191], a[160:163], v[32:35], v[176:191]// 00000000A278: D3B700B0 0EC241A0
	v_mfma_f32_32x32x16_bf16 v[176:191], a[164:167], v[36:39], v[176:191]// 00000000A280: D3B700B0 0EC249A4
	v_mfma_f32_32x32x16_bf16 v[176:191], a[168:171], v[40:43], v[176:191]// 00000000A288: D3B700B0 0EC251A8
	v_mfma_f32_32x32x16_bf16 v[176:191], a[172:175], v[44:47], v[176:191]// 00000000A290: D3B700B0 0EC259AC
	v_mfma_f32_32x32x16_bf16 v[192:207], a[176:179], v[32:35], v[192:207]// 00000000A298: D3B700C0 0F0241B0
	v_mfma_f32_32x32x16_bf16 v[192:207], a[180:183], v[36:39], v[192:207]// 00000000A2A0: D3B700C0 0F0249B4
	v_mfma_f32_32x32x16_bf16 v[192:207], a[184:187], v[40:43], v[192:207]// 00000000A2A8: D3B700C0 0F0251B8
	v_mfma_f32_32x32x16_bf16 v[192:207], a[188:191], v[44:47], v[192:207]// 00000000A2B0: D3B700C0 0F0259BC
	v_mfma_f32_32x32x16_bf16 v[208:223], a[192:195], v[32:35], v[208:223]// 00000000A2B8: D3B700D0 0F4241C0
	v_mfma_f32_32x32x16_bf16 v[208:223], a[196:199], v[36:39], v[208:223]// 00000000A2C0: D3B700D0 0F4249C4
	v_mfma_f32_32x32x16_bf16 v[208:223], a[200:203], v[40:43], v[208:223]// 00000000A2C8: D3B700D0 0F4251C8
	v_mfma_f32_32x32x16_bf16 v[208:223], a[204:207], v[44:47], v[208:223]// 00000000A2D0: D3B700D0 0F4259CC
	s_waitcnt vmcnt(0) expcnt(0) lgkmcnt(0)                    // 00000000A2D8: BF8C0000
	s_barrier                                                  // 00000000A2DC: BF8A0000
	ds_read_b64_tr_b16 a[144:145], v30 offset:17408            // 00000000A2E0: DBC64400 9000001E
	ds_read_b64_tr_b16 a[146:147], v30 offset:17920            // 00000000A2E8: DBC64600 9200001E
	ds_read_b64_tr_b16 a[148:149], v30 offset:19584            // 00000000A2F0: DBC64C80 9400001E
	ds_read_b64_tr_b16 a[150:151], v30 offset:20096            // 00000000A2F8: DBC64E80 9600001E
	ds_read_b64_tr_b16 a[152:153], v30 offset:21760            // 00000000A300: DBC65500 9800001E
	ds_read_b64_tr_b16 a[154:155], v30 offset:22272            // 00000000A308: DBC65700 9A00001E
	ds_read_b64_tr_b16 a[156:157], v30 offset:23936            // 00000000A310: DBC65D80 9C00001E
	ds_read_b64_tr_b16 a[158:159], v30 offset:24448            // 00000000A318: DBC65F80 9E00001E
	ds_read_b64_tr_b16 a[160:161], v30 offset:17472            // 00000000A320: DBC64440 A000001E
	ds_read_b64_tr_b16 a[162:163], v30 offset:17984            // 00000000A328: DBC64640 A200001E
	ds_read_b64_tr_b16 a[164:165], v30 offset:19648            // 00000000A330: DBC64CC0 A400001E
	ds_read_b64_tr_b16 a[166:167], v30 offset:20160            // 00000000A338: DBC64EC0 A600001E
	ds_read_b64_tr_b16 a[168:169], v30 offset:21824            // 00000000A340: DBC65540 A800001E
	ds_read_b64_tr_b16 a[170:171], v30 offset:22336            // 00000000A348: DBC65740 AA00001E
	ds_read_b64_tr_b16 a[172:173], v30 offset:24000            // 00000000A350: DBC65DC0 AC00001E
	ds_read_b64_tr_b16 a[174:175], v30 offset:24512            // 00000000A358: DBC65FC0 AE00001E
	ds_read_b64_tr_b16 a[176:177], v31 offset:17408            // 00000000A360: DBC64400 B000001F
	ds_read_b64_tr_b16 a[178:179], v31 offset:17920            // 00000000A368: DBC64600 B200001F
	ds_read_b64_tr_b16 a[180:181], v31 offset:19584            // 00000000A370: DBC64C80 B400001F
	ds_read_b64_tr_b16 a[182:183], v31 offset:20096            // 00000000A378: DBC64E80 B600001F
	ds_read_b64_tr_b16 a[184:185], v31 offset:21760            // 00000000A380: DBC65500 B800001F
	ds_read_b64_tr_b16 a[186:187], v31 offset:22272            // 00000000A388: DBC65700 BA00001F
	ds_read_b64_tr_b16 a[188:189], v31 offset:23936            // 00000000A390: DBC65D80 BC00001F
	ds_read_b64_tr_b16 a[190:191], v31 offset:24448            // 00000000A398: DBC65F80 BE00001F
	ds_read_b64_tr_b16 a[192:193], v31 offset:17472            // 00000000A3A0: DBC64440 C000001F
	ds_read_b64_tr_b16 a[194:195], v31 offset:17984            // 00000000A3A8: DBC64640 C200001F
	ds_read_b64_tr_b16 a[196:197], v31 offset:19648            // 00000000A3B0: DBC64CC0 C400001F
	ds_read_b64_tr_b16 a[198:199], v31 offset:20160            // 00000000A3B8: DBC64EC0 C600001F
	ds_read_b64_tr_b16 a[200:201], v31 offset:21824            // 00000000A3C0: DBC65540 C800001F
	ds_read_b64_tr_b16 a[202:203], v31 offset:22336            // 00000000A3C8: DBC65740 CA00001F
	ds_read_b64_tr_b16 a[204:205], v31 offset:24000            // 00000000A3D0: DBC65DC0 CC00001F
	ds_read_b64_tr_b16 a[206:207], v31 offset:24512            // 00000000A3D8: DBC65FC0 CE00001F
	s_waitcnt lgkmcnt(0)                                       // 00000000A3E0: BF8CC07F
	s_nop 0                                                    // 00000000A3E4: BF800000
	v_mfma_f32_32x32x16_bf16 v[160:175], a[144:147], v[48:51], v[160:175]// 00000000A3E8: D3B700A0 0E826190
	v_mfma_f32_32x32x16_bf16 v[160:175], a[148:151], v[52:55], v[160:175]// 00000000A3F0: D3B700A0 0E826994
	v_mfma_f32_32x32x16_bf16 v[160:175], a[152:155], v[56:59], v[160:175]// 00000000A3F8: D3B700A0 0E827198
	v_mfma_f32_32x32x16_bf16 v[160:175], a[156:159], v[60:63], v[160:175]// 00000000A400: D3B700A0 0E82799C
	v_mfma_f32_32x32x16_bf16 v[176:191], a[160:163], v[48:51], v[176:191]// 00000000A408: D3B700B0 0EC261A0
	v_mfma_f32_32x32x16_bf16 v[176:191], a[164:167], v[52:55], v[176:191]// 00000000A410: D3B700B0 0EC269A4
	v_mfma_f32_32x32x16_bf16 v[176:191], a[168:171], v[56:59], v[176:191]// 00000000A418: D3B700B0 0EC271A8
	v_mfma_f32_32x32x16_bf16 v[176:191], a[172:175], v[60:63], v[176:191]// 00000000A420: D3B700B0 0EC279AC
	v_mfma_f32_32x32x16_bf16 v[192:207], a[176:179], v[48:51], v[192:207]// 00000000A428: D3B700C0 0F0261B0
	v_mfma_f32_32x32x16_bf16 v[192:207], a[180:183], v[52:55], v[192:207]// 00000000A430: D3B700C0 0F0269B4
	v_mfma_f32_32x32x16_bf16 v[192:207], a[184:187], v[56:59], v[192:207]// 00000000A438: D3B700C0 0F0271B8
	v_mfma_f32_32x32x16_bf16 v[192:207], a[188:191], v[60:63], v[192:207]// 00000000A440: D3B700C0 0F0279BC
	v_mfma_f32_32x32x16_bf16 v[208:223], a[192:195], v[48:51], v[208:223]// 00000000A448: D3B700D0 0F4261C0
	v_mfma_f32_32x32x16_bf16 v[208:223], a[196:199], v[52:55], v[208:223]// 00000000A450: D3B700D0 0F4269C4
	v_mfma_f32_32x32x16_bf16 v[208:223], a[200:203], v[56:59], v[208:223]// 00000000A458: D3B700D0 0F4271C8
	v_mfma_f32_32x32x16_bf16 v[208:223], a[204:207], v[60:63], v[208:223]// 00000000A460: D3B700D0 0F4279CC

000000000000a468 <label_1C5A>:
	v_cvt_f32_u32_e32 v226, s40                                // 00000000A468: 7FC40C28
	s_sub_i32 s72, 0, s40                                      // 00000000A46C: 81C82880
	v_rcp_iflag_f32_e32 v226, v226                             // 00000000A470: 7FC447E2
	s_nop 0                                                    // 00000000A474: BF800000
	v_mul_f32_e32 v226, 0x4f7ffffe, v226                       // 00000000A478: 0BC5C4FF 4F7FFFFE
	v_cvt_u32_f32_e32 v226, v226                               // 00000000A480: 7FC40FE2
	v_mul_lo_u32 v227, s72, v226                               // 00000000A484: D28500E3 0003C448
	v_mul_hi_u32 v227, v226, v227                              // 00000000A48C: D28600E3 0003C7E2
	v_add_u32_e32 v226, v226, v227                             // 00000000A494: 69C5C7E2
	v_mul_hi_u32 v226, s67, v226                               // 00000000A498: D28600E2 0003C443
	v_mul_lo_u32 v227, v226, s40                               // 00000000A4A0: D28500E3 000051E2
	v_sub_u32_e32 v229, s67, v227                              // 00000000A4A8: 6BCBC643
	v_add_u32_e32 v228, 1, v226                                // 00000000A4AC: 69C9C481
	v_cmp_le_u32_e32 vcc, s40, v229                            // 00000000A4B0: 7D97CA28
	v_subrev_u32_e32 v227, s40, v229                           // 00000000A4B4: 6DC7CA28
	s_nop 0                                                    // 00000000A4B8: BF800000
	v_cndmask_b32_e32 v226, v226, v228, vcc                    // 00000000A4BC: 01C5C9E2
	v_cndmask_b32_e32 v229, v229, v227, vcc                    // 00000000A4C0: 01CBC7E5
	v_add_u32_e32 v227, 1, v226                                // 00000000A4C4: 69C7C481
	v_cmp_le_u32_e32 vcc, s40, v229                            // 00000000A4C8: 7D97CA28
	s_nop 1                                                    // 00000000A4CC: BF800001
	v_cndmask_b32_e32 v229, v226, v227, vcc                    // 00000000A4D0: 01CBC7E2
	s_nop 3                                                    // 00000000A4D4: BF800003
	v_readfirstlane_b32 s67, v229                              // 00000000A4D8: 7E8605E5
	s_nop 3                                                    // 00000000A4DC: BF800003
	s_mul_i32 s67, s67, s51                                    // 00000000A4E0: 92433343
	v_lshrrev_b32_e32 v226, 4, v0                              // 00000000A4E4: 21C40084
	v_and_b32_e32 v227, 1, v226                                // 00000000A4E8: 27C7C481
	v_mul_i32_i24_e32 v227, 32, v227                           // 00000000A4EC: 0DC7C6A0
	v_lshrrev_b32_e32 v228, 1, v226                            // 00000000A4F0: 21C9C481
	v_mul_i32_i24_e32 v228, 16, v228                           // 00000000A4F4: 0DC9C890
	v_add_u32_e32 v227, v228, v227                             // 00000000A4F8: 69C7C7E4
	v_and_b32_e32 v226, 15, v0                                 // 00000000A4FC: 27C4008F
	v_mul_i32_i24_e32 v226, s51, v226                          // 00000000A500: 0DC5C433
	v_add_u32_e32 v226, v227, v226                             // 00000000A504: 69C5C5E3
	s_mul_i32 s72, s5, s51                                     // 00000000A508: 92483305
	s_mul_i32 s72, s72, 32                                     // 00000000A50C: 9248A048
	s_add_u32 s72, s67, s72                                    // 00000000A510: 80484843
	v_add_u32_e32 v5, s72, v226                                // 00000000A514: 680BC448
	s_mul_i32 s72, s2, 0x80                                    // 00000000A518: 9248FF02 00000080
	v_and_b32_e32 v224, 31, v0                                 // 00000000A520: 27C0009F
	v_add_u32_e32 v224, s72, v224                              // 00000000A524: 69C1C048
	s_mul_i32 s72, s5, 32                                      // 00000000A528: 9248A005
	v_add_u32_e32 v224, s72, v224                              // 00000000A52C: 69C1C048
	v_lshlrev_b32_e32 v224, 2, v224                            // 00000000A530: 25C1C082
	v_mul_f32_e64 v226, v233, s6                               // 00000000A534: D10500E2 00000DE9
	v_log_f32_e32 v227, v232                                   // 00000000A53C: 7FC643E8
	v_cmp_eq_f32_e64 s[72:73], v232, 0                         // 00000000A540: D0420048 000101E8
	s_nop 1                                                    // 00000000A548: BF800001
	v_rcp_f32_e32 v232, v232                                   // 00000000A54C: 7FD045E8
	s_nop 1                                                    // 00000000A550: BF800001
	v_cndmask_b32_e64 v232, v232, 0, s[72:73]                  // 00000000A554: D10000E8 012101E8
	v_fma_f32 v239, v227, s31, v226                            // 00000000A55C: D1CB00EF 07883FE3
	s_mul_i32 s72, s51, 16                                     // 00000000A564: 92489033
	v_add_u32_e32 v6, s72, v5                                  // 00000000A568: 680C0A48
	v_mov_b32_e32 v233, v232                                   // 00000000A56C: 7FD203E8
	v_pk_mul_f32 v[160:161], v[232:233], v[160:161]            // 00000000A570: D3B140A0 180341E8
	v_pk_mul_f32 v[162:163], v[232:233], v[162:163]            // 00000000A578: D3B140A2 180345E8
	v_pk_mul_f32 v[164:165], v[232:233], v[164:165]            // 00000000A580: D3B140A4 180349E8
	v_pk_mul_f32 v[166:167], v[232:233], v[166:167]            // 00000000A588: D3B140A6 18034DE8
	v_pk_mul_f32 v[168:169], v[232:233], v[168:169]            // 00000000A590: D3B140A8 180351E8
	v_pk_mul_f32 v[170:171], v[232:233], v[170:171]            // 00000000A598: D3B140AA 180355E8
	v_pk_mul_f32 v[172:173], v[232:233], v[172:173]            // 00000000A5A0: D3B140AC 180359E8
	v_pk_mul_f32 v[174:175], v[232:233], v[174:175]            // 00000000A5A8: D3B140AE 18035DE8
	v_cvt_pk_bf16_f32 v160, v160, v161                         // 00000000A5B0: D26800A0 000343A0
	v_cvt_pk_bf16_f32 v161, v162, v163                         // 00000000A5B8: D26800A1 000347A2
	v_cvt_pk_bf16_f32 v162, v164, v165                         // 00000000A5C0: D26800A2 00034BA4
	v_cvt_pk_bf16_f32 v163, v166, v167                         // 00000000A5C8: D26800A3 00034FA6
	v_nop                                                      // 00000000A5D0: 7E000000
	v_permlane32_swap_b32_e32 v160, v162                       // 00000000A5D4: 7F40B5A2
	v_permlane32_swap_b32_e32 v161, v163                       // 00000000A5D8: 7F42B5A3
	v_cvt_pk_bf16_f32 v168, v168, v169                         // 00000000A5DC: D26800A8 000353A8
	v_cvt_pk_bf16_f32 v169, v170, v171                         // 00000000A5E4: D26800A9 000357AA
	v_cvt_pk_bf16_f32 v170, v172, v173                         // 00000000A5EC: D26800AA 00035BAC
	v_cvt_pk_bf16_f32 v171, v174, v175                         // 00000000A5F4: D26800AB 00035FAE
	v_nop                                                      // 00000000A5FC: 7E000000
	v_permlane32_swap_b32_e32 v168, v170                       // 00000000A600: 7F50B5AA
	v_permlane32_swap_b32_e32 v169, v171                       // 00000000A604: 7F52B5AB
	v_permlane16_swap_b32_e32 v160, v168                       // 00000000A608: 7F40B3A8
	v_permlane16_swap_b32_e32 v161, v169                       // 00000000A60C: 7F42B3A9
	v_permlane16_swap_b32_e32 v162, v170                       // 00000000A610: 7F44B3AA
	v_permlane16_swap_b32_e32 v163, v171                       // 00000000A614: 7F46B3AB
	buffer_store_dwordx4 v[160:163], v5, s[20:23], 0 offen     // 00000000A618: E07C1000 8005A005
	buffer_store_dwordx4 v[168:171], v6, s[20:23], 0 offen     // 00000000A620: E07C1000 8005A806
	v_pk_mul_f32 v[176:177], v[232:233], v[176:177]            // 00000000A628: D3B140B0 180361E8
	v_pk_mul_f32 v[178:179], v[232:233], v[178:179]            // 00000000A630: D3B140B2 180365E8
	v_pk_mul_f32 v[180:181], v[232:233], v[180:181]            // 00000000A638: D3B140B4 180369E8
	v_pk_mul_f32 v[182:183], v[232:233], v[182:183]            // 00000000A640: D3B140B6 18036DE8
	v_pk_mul_f32 v[184:185], v[232:233], v[184:185]            // 00000000A648: D3B140B8 180371E8
	v_pk_mul_f32 v[186:187], v[232:233], v[186:187]            // 00000000A650: D3B140BA 180375E8
	v_pk_mul_f32 v[188:189], v[232:233], v[188:189]            // 00000000A658: D3B140BC 180379E8
	v_pk_mul_f32 v[190:191], v[232:233], v[190:191]            // 00000000A660: D3B140BE 18037DE8
	v_cvt_pk_bf16_f32 v176, v176, v177                         // 00000000A668: D26800B0 000363B0
	v_cvt_pk_bf16_f32 v177, v178, v179                         // 00000000A670: D26800B1 000367B2
	v_cvt_pk_bf16_f32 v178, v180, v181                         // 00000000A678: D26800B2 00036BB4
	v_cvt_pk_bf16_f32 v179, v182, v183                         // 00000000A680: D26800B3 00036FB6
	v_nop                                                      // 00000000A688: 7E000000
	v_permlane32_swap_b32_e32 v176, v178                       // 00000000A68C: 7F60B5B2
	v_permlane32_swap_b32_e32 v177, v179                       // 00000000A690: 7F62B5B3
	v_cvt_pk_bf16_f32 v184, v184, v185                         // 00000000A694: D26800B8 000373B8
	v_cvt_pk_bf16_f32 v185, v186, v187                         // 00000000A69C: D26800B9 000377BA
	v_cvt_pk_bf16_f32 v186, v188, v189                         // 00000000A6A4: D26800BA 00037BBC
	v_cvt_pk_bf16_f32 v187, v190, v191                         // 00000000A6AC: D26800BB 00037FBE
	v_nop                                                      // 00000000A6B4: 7E000000
	v_permlane32_swap_b32_e32 v184, v186                       // 00000000A6B8: 7F70B5BA
	v_permlane32_swap_b32_e32 v185, v187                       // 00000000A6BC: 7F72B5BB
	v_permlane16_swap_b32_e32 v176, v184                       // 00000000A6C0: 7F60B3B8
	v_permlane16_swap_b32_e32 v177, v185                       // 00000000A6C4: 7F62B3B9
	v_permlane16_swap_b32_e32 v178, v186                       // 00000000A6C8: 7F64B3BA
	v_permlane16_swap_b32_e32 v179, v187                       // 00000000A6CC: 7F66B3BB
	buffer_store_dwordx4 v[176:179], v5, s[20:23], 0 offen offset:64// 00000000A6D0: E07C1040 8005B005
	buffer_store_dwordx4 v[184:187], v6, s[20:23], 0 offen offset:64// 00000000A6D8: E07C1040 8005B806
	v_pk_mul_f32 v[192:193], v[232:233], v[192:193]            // 00000000A6E0: D3B140C0 180381E8
	v_pk_mul_f32 v[194:195], v[232:233], v[194:195]            // 00000000A6E8: D3B140C2 180385E8
	v_pk_mul_f32 v[196:197], v[232:233], v[196:197]            // 00000000A6F0: D3B140C4 180389E8
	v_pk_mul_f32 v[198:199], v[232:233], v[198:199]            // 00000000A6F8: D3B140C6 18038DE8
	v_pk_mul_f32 v[200:201], v[232:233], v[200:201]            // 00000000A700: D3B140C8 180391E8
	v_pk_mul_f32 v[202:203], v[232:233], v[202:203]            // 00000000A708: D3B140CA 180395E8
	v_pk_mul_f32 v[204:205], v[232:233], v[204:205]            // 00000000A710: D3B140CC 180399E8
	v_pk_mul_f32 v[206:207], v[232:233], v[206:207]            // 00000000A718: D3B140CE 18039DE8
	v_cvt_pk_bf16_f32 v192, v192, v193                         // 00000000A720: D26800C0 000383C0
	v_cvt_pk_bf16_f32 v193, v194, v195                         // 00000000A728: D26800C1 000387C2
	v_cvt_pk_bf16_f32 v194, v196, v197                         // 00000000A730: D26800C2 00038BC4
	v_cvt_pk_bf16_f32 v195, v198, v199                         // 00000000A738: D26800C3 00038FC6
	v_nop                                                      // 00000000A740: 7E000000
	v_permlane32_swap_b32_e32 v192, v194                       // 00000000A744: 7F80B5C2
	v_permlane32_swap_b32_e32 v193, v195                       // 00000000A748: 7F82B5C3
	v_cvt_pk_bf16_f32 v200, v200, v201                         // 00000000A74C: D26800C8 000393C8
	v_cvt_pk_bf16_f32 v201, v202, v203                         // 00000000A754: D26800C9 000397CA
	v_cvt_pk_bf16_f32 v202, v204, v205                         // 00000000A75C: D26800CA 00039BCC
	v_cvt_pk_bf16_f32 v203, v206, v207                         // 00000000A764: D26800CB 00039FCE
	v_nop                                                      // 00000000A76C: 7E000000
	v_permlane32_swap_b32_e32 v200, v202                       // 00000000A770: 7F90B5CA
	v_permlane32_swap_b32_e32 v201, v203                       // 00000000A774: 7F92B5CB
	v_permlane16_swap_b32_e32 v192, v200                       // 00000000A778: 7F80B3C8
	v_permlane16_swap_b32_e32 v193, v201                       // 00000000A77C: 7F82B3C9
	v_permlane16_swap_b32_e32 v194, v202                       // 00000000A780: 7F84B3CA
	v_permlane16_swap_b32_e32 v195, v203                       // 00000000A784: 7F86B3CB
	buffer_store_dwordx4 v[192:195], v5, s[20:23], 0 offen offset:128// 00000000A788: E07C1080 8005C005
	buffer_store_dwordx4 v[200:203], v6, s[20:23], 0 offen offset:128// 00000000A790: E07C1080 8005C806
	v_pk_mul_f32 v[208:209], v[232:233], v[208:209]            // 00000000A798: D3B140D0 1803A1E8
	v_pk_mul_f32 v[210:211], v[232:233], v[210:211]            // 00000000A7A0: D3B140D2 1803A5E8
	v_pk_mul_f32 v[212:213], v[232:233], v[212:213]            // 00000000A7A8: D3B140D4 1803A9E8
	v_pk_mul_f32 v[214:215], v[232:233], v[214:215]            // 00000000A7B0: D3B140D6 1803ADE8
	v_pk_mul_f32 v[216:217], v[232:233], v[216:217]            // 00000000A7B8: D3B140D8 1803B1E8
	v_pk_mul_f32 v[218:219], v[232:233], v[218:219]            // 00000000A7C0: D3B140DA 1803B5E8
	v_pk_mul_f32 v[220:221], v[232:233], v[220:221]            // 00000000A7C8: D3B140DC 1803B9E8
	v_pk_mul_f32 v[222:223], v[232:233], v[222:223]            // 00000000A7D0: D3B140DE 1803BDE8
	v_cvt_pk_bf16_f32 v208, v208, v209                         // 00000000A7D8: D26800D0 0003A3D0
	v_cvt_pk_bf16_f32 v209, v210, v211                         // 00000000A7E0: D26800D1 0003A7D2
	v_cvt_pk_bf16_f32 v210, v212, v213                         // 00000000A7E8: D26800D2 0003ABD4
	v_cvt_pk_bf16_f32 v211, v214, v215                         // 00000000A7F0: D26800D3 0003AFD6
	v_nop                                                      // 00000000A7F8: 7E000000
	v_permlane32_swap_b32_e32 v208, v210                       // 00000000A7FC: 7FA0B5D2
	.long 0x7fa2b5d3                                           // 00000000A800: 7FA2B5D3
	v_cvt_pk_bf16_f32 v216, v216, v217                         // 00000000A804: D26800D8 0003B3D8
	v_cvt_pk_bf16_f32 v217, v218, v219                         // 00000000A80C: D26800D9 0003B7DA
	v_cvt_pk_bf16_f32 v218, v220, v221                         // 00000000A814: D26800DA 0003BBDC
	v_cvt_pk_bf16_f32 v219, v222, v223                         // 00000000A81C: D26800DB 0003BFDE
	v_nop                                                      // 00000000A824: 7E000000
	.long 0x7fb0b5da                                           // 00000000A828: 7FB0B5DA
	.long 0x7fb2b5db                                           // 00000000A82C: 7FB2B5DB
	v_permlane16_swap_b32_e32 v208, v216                       // 00000000A830: 7FA0B3D8
	.long 0x7fa2b3d9                                           // 00000000A834: 7FA2B3D9
	.long 0x7fa4b3da                                           // 00000000A838: 7FA4B3DA
	.long 0x7fa6b3db                                           // 00000000A83C: 7FA6B3DB
	buffer_store_dwordx4 v[208:211], v5, s[20:23], 0 offen offset:192// 00000000A840: E07C10C0 8005D005
	buffer_store_dwordx4 v[216:219], v6, s[20:23], 0 offen offset:192// 00000000A848: E07C10C0 8005D806
	s_cmp_eq_u32 s29, 0                                        // 00000000A850: BF06801D
	s_cbranch_scc1 label_1D5C                                  // 00000000A854: BF850006
	v_cmp_ge_f32_e64 s[72:73], v239, v225                      // 00000000A858: D0460048 0003C3EF
	v_cndmask_b32_e64 v239, v225, v239, s[72:73]               // 00000000A860: D10000EF 0123DFE1
	buffer_store_dword v239, v224, s[24:27], 0 offen           // 00000000A868: E0701000 8006EFE0

000000000000a870 <label_1D5C>:
	s_waitcnt vmcnt(0) expcnt(0) lgkmcnt(0)                    // 00000000A870: BF8C0000
	s_endpgm                                                   // 00000000A874: BF810000
